;; amdgpu-corpus repo=ROCm/rocFFT kind=compiled arch=gfx1201 opt=O3
	.text
	.amdgcn_target "amdgcn-amd-amdhsa--gfx1201"
	.amdhsa_code_object_version 6
	.protected	fft_rtc_back_len1870_factors_17_10_11_wgs_187_tpt_187_halfLds_half_ip_CI_unitstride_sbrr_C2R_dirReg ; -- Begin function fft_rtc_back_len1870_factors_17_10_11_wgs_187_tpt_187_halfLds_half_ip_CI_unitstride_sbrr_C2R_dirReg
	.globl	fft_rtc_back_len1870_factors_17_10_11_wgs_187_tpt_187_halfLds_half_ip_CI_unitstride_sbrr_C2R_dirReg
	.p2align	8
	.type	fft_rtc_back_len1870_factors_17_10_11_wgs_187_tpt_187_halfLds_half_ip_CI_unitstride_sbrr_C2R_dirReg,@function
fft_rtc_back_len1870_factors_17_10_11_wgs_187_tpt_187_halfLds_half_ip_CI_unitstride_sbrr_C2R_dirReg: ; @fft_rtc_back_len1870_factors_17_10_11_wgs_187_tpt_187_halfLds_half_ip_CI_unitstride_sbrr_C2R_dirReg
; %bb.0:
	s_clause 0x2
	s_load_b128 s[4:7], s[0:1], 0x0
	s_load_b64 s[8:9], s[0:1], 0x50
	s_load_b64 s[10:11], s[0:1], 0x18
	v_mul_u32_u24_e32 v1, 0x15f, v0
	v_mov_b32_e32 v3, 0
	s_delay_alu instid0(VALU_DEP_2) | instskip(NEXT) | instid1(VALU_DEP_1)
	v_lshrrev_b32_e32 v1, 16, v1
	v_add_nc_u32_e32 v5, ttmp9, v1
	v_mov_b32_e32 v1, 0
	v_mov_b32_e32 v2, 0
	;; [unrolled: 1-line block ×3, first 2 shown]
	s_wait_kmcnt 0x0
	v_cmp_lt_u64_e64 s2, s[6:7], 2
	s_delay_alu instid0(VALU_DEP_1)
	s_and_b32 vcc_lo, exec_lo, s2
	s_cbranch_vccnz .LBB0_8
; %bb.1:
	s_load_b64 s[2:3], s[0:1], 0x10
	v_mov_b32_e32 v1, 0
	v_mov_b32_e32 v2, 0
	s_add_nc_u64 s[12:13], s[10:11], 8
	s_mov_b64 s[14:15], 1
	s_wait_kmcnt 0x0
	s_add_nc_u64 s[16:17], s[2:3], 8
	s_mov_b32 s3, 0
.LBB0_2:                                ; =>This Inner Loop Header: Depth=1
	s_load_b64 s[18:19], s[16:17], 0x0
                                        ; implicit-def: $vgpr7_vgpr8
	s_mov_b32 s2, exec_lo
	s_wait_kmcnt 0x0
	v_or_b32_e32 v4, s19, v6
	s_delay_alu instid0(VALU_DEP_1)
	v_cmpx_ne_u64_e32 0, v[3:4]
	s_wait_alu 0xfffe
	s_xor_b32 s20, exec_lo, s2
	s_cbranch_execz .LBB0_4
; %bb.3:                                ;   in Loop: Header=BB0_2 Depth=1
	s_cvt_f32_u32 s2, s18
	s_cvt_f32_u32 s21, s19
	s_sub_nc_u64 s[24:25], 0, s[18:19]
	s_wait_alu 0xfffe
	s_delay_alu instid0(SALU_CYCLE_1) | instskip(SKIP_1) | instid1(SALU_CYCLE_2)
	s_fmamk_f32 s2, s21, 0x4f800000, s2
	s_wait_alu 0xfffe
	v_s_rcp_f32 s2, s2
	s_delay_alu instid0(TRANS32_DEP_1) | instskip(SKIP_1) | instid1(SALU_CYCLE_2)
	s_mul_f32 s2, s2, 0x5f7ffffc
	s_wait_alu 0xfffe
	s_mul_f32 s21, s2, 0x2f800000
	s_wait_alu 0xfffe
	s_delay_alu instid0(SALU_CYCLE_2) | instskip(SKIP_1) | instid1(SALU_CYCLE_2)
	s_trunc_f32 s21, s21
	s_wait_alu 0xfffe
	s_fmamk_f32 s2, s21, 0xcf800000, s2
	s_cvt_u32_f32 s23, s21
	s_wait_alu 0xfffe
	s_delay_alu instid0(SALU_CYCLE_1) | instskip(SKIP_1) | instid1(SALU_CYCLE_2)
	s_cvt_u32_f32 s22, s2
	s_wait_alu 0xfffe
	s_mul_u64 s[26:27], s[24:25], s[22:23]
	s_wait_alu 0xfffe
	s_mul_hi_u32 s29, s22, s27
	s_mul_i32 s28, s22, s27
	s_mul_hi_u32 s2, s22, s26
	s_mul_i32 s30, s23, s26
	s_wait_alu 0xfffe
	s_add_nc_u64 s[28:29], s[2:3], s[28:29]
	s_mul_hi_u32 s21, s23, s26
	s_mul_hi_u32 s31, s23, s27
	s_add_co_u32 s2, s28, s30
	s_wait_alu 0xfffe
	s_add_co_ci_u32 s2, s29, s21
	s_mul_i32 s26, s23, s27
	s_add_co_ci_u32 s27, s31, 0
	s_wait_alu 0xfffe
	s_add_nc_u64 s[26:27], s[2:3], s[26:27]
	s_wait_alu 0xfffe
	v_add_co_u32 v4, s2, s22, s26
	s_delay_alu instid0(VALU_DEP_1) | instskip(SKIP_1) | instid1(VALU_DEP_1)
	s_cmp_lg_u32 s2, 0
	s_add_co_ci_u32 s23, s23, s27
	v_readfirstlane_b32 s22, v4
	s_wait_alu 0xfffe
	s_delay_alu instid0(VALU_DEP_1)
	s_mul_u64 s[24:25], s[24:25], s[22:23]
	s_wait_alu 0xfffe
	s_mul_hi_u32 s27, s22, s25
	s_mul_i32 s26, s22, s25
	s_mul_hi_u32 s2, s22, s24
	s_mul_i32 s28, s23, s24
	s_wait_alu 0xfffe
	s_add_nc_u64 s[26:27], s[2:3], s[26:27]
	s_mul_hi_u32 s21, s23, s24
	s_mul_hi_u32 s22, s23, s25
	s_wait_alu 0xfffe
	s_add_co_u32 s2, s26, s28
	s_add_co_ci_u32 s2, s27, s21
	s_mul_i32 s24, s23, s25
	s_add_co_ci_u32 s25, s22, 0
	s_wait_alu 0xfffe
	s_add_nc_u64 s[24:25], s[2:3], s[24:25]
	s_wait_alu 0xfffe
	v_add_co_u32 v4, s2, v4, s24
	s_delay_alu instid0(VALU_DEP_1) | instskip(SKIP_1) | instid1(VALU_DEP_1)
	s_cmp_lg_u32 s2, 0
	s_add_co_ci_u32 s2, s23, s25
	v_mul_hi_u32 v13, v5, v4
	s_wait_alu 0xfffe
	v_mad_co_u64_u32 v[7:8], null, v5, s2, 0
	v_mad_co_u64_u32 v[9:10], null, v6, v4, 0
	;; [unrolled: 1-line block ×3, first 2 shown]
	s_delay_alu instid0(VALU_DEP_3) | instskip(SKIP_1) | instid1(VALU_DEP_4)
	v_add_co_u32 v4, vcc_lo, v13, v7
	s_wait_alu 0xfffd
	v_add_co_ci_u32_e32 v7, vcc_lo, 0, v8, vcc_lo
	s_delay_alu instid0(VALU_DEP_2) | instskip(SKIP_1) | instid1(VALU_DEP_2)
	v_add_co_u32 v4, vcc_lo, v4, v9
	s_wait_alu 0xfffd
	v_add_co_ci_u32_e32 v4, vcc_lo, v7, v10, vcc_lo
	s_wait_alu 0xfffd
	v_add_co_ci_u32_e32 v7, vcc_lo, 0, v12, vcc_lo
	s_delay_alu instid0(VALU_DEP_2) | instskip(SKIP_1) | instid1(VALU_DEP_2)
	v_add_co_u32 v4, vcc_lo, v4, v11
	s_wait_alu 0xfffd
	v_add_co_ci_u32_e32 v9, vcc_lo, 0, v7, vcc_lo
	s_delay_alu instid0(VALU_DEP_2) | instskip(SKIP_1) | instid1(VALU_DEP_3)
	v_mul_lo_u32 v10, s19, v4
	v_mad_co_u64_u32 v[7:8], null, s18, v4, 0
	v_mul_lo_u32 v11, s18, v9
	s_delay_alu instid0(VALU_DEP_2) | instskip(NEXT) | instid1(VALU_DEP_2)
	v_sub_co_u32 v7, vcc_lo, v5, v7
	v_add3_u32 v8, v8, v11, v10
	s_delay_alu instid0(VALU_DEP_1) | instskip(SKIP_1) | instid1(VALU_DEP_1)
	v_sub_nc_u32_e32 v10, v6, v8
	s_wait_alu 0xfffd
	v_subrev_co_ci_u32_e64 v10, s2, s19, v10, vcc_lo
	v_add_co_u32 v11, s2, v4, 2
	s_wait_alu 0xf1ff
	v_add_co_ci_u32_e64 v12, s2, 0, v9, s2
	v_sub_co_u32 v13, s2, v7, s18
	v_sub_co_ci_u32_e32 v8, vcc_lo, v6, v8, vcc_lo
	s_wait_alu 0xf1ff
	v_subrev_co_ci_u32_e64 v10, s2, 0, v10, s2
	s_delay_alu instid0(VALU_DEP_3) | instskip(NEXT) | instid1(VALU_DEP_3)
	v_cmp_le_u32_e32 vcc_lo, s18, v13
	v_cmp_eq_u32_e64 s2, s19, v8
	s_wait_alu 0xfffd
	v_cndmask_b32_e64 v13, 0, -1, vcc_lo
	v_cmp_le_u32_e32 vcc_lo, s19, v10
	s_wait_alu 0xfffd
	v_cndmask_b32_e64 v14, 0, -1, vcc_lo
	v_cmp_le_u32_e32 vcc_lo, s18, v7
	;; [unrolled: 3-line block ×3, first 2 shown]
	s_wait_alu 0xfffd
	v_cndmask_b32_e64 v15, 0, -1, vcc_lo
	v_cmp_eq_u32_e32 vcc_lo, s19, v10
	s_wait_alu 0xf1ff
	s_delay_alu instid0(VALU_DEP_2)
	v_cndmask_b32_e64 v7, v15, v7, s2
	s_wait_alu 0xfffd
	v_cndmask_b32_e32 v10, v14, v13, vcc_lo
	v_add_co_u32 v13, vcc_lo, v4, 1
	s_wait_alu 0xfffd
	v_add_co_ci_u32_e32 v14, vcc_lo, 0, v9, vcc_lo
	s_delay_alu instid0(VALU_DEP_3) | instskip(SKIP_2) | instid1(VALU_DEP_3)
	v_cmp_ne_u32_e32 vcc_lo, 0, v10
	s_wait_alu 0xfffd
	v_cndmask_b32_e32 v10, v13, v11, vcc_lo
	v_cndmask_b32_e32 v8, v14, v12, vcc_lo
	v_cmp_ne_u32_e32 vcc_lo, 0, v7
	s_wait_alu 0xfffd
	s_delay_alu instid0(VALU_DEP_2)
	v_dual_cndmask_b32 v7, v4, v10 :: v_dual_cndmask_b32 v8, v9, v8
.LBB0_4:                                ;   in Loop: Header=BB0_2 Depth=1
	s_wait_alu 0xfffe
	s_and_not1_saveexec_b32 s2, s20
	s_cbranch_execz .LBB0_6
; %bb.5:                                ;   in Loop: Header=BB0_2 Depth=1
	v_cvt_f32_u32_e32 v4, s18
	s_sub_co_i32 s20, 0, s18
	s_delay_alu instid0(VALU_DEP_1) | instskip(NEXT) | instid1(TRANS32_DEP_1)
	v_rcp_iflag_f32_e32 v4, v4
	v_mul_f32_e32 v4, 0x4f7ffffe, v4
	s_delay_alu instid0(VALU_DEP_1) | instskip(SKIP_1) | instid1(VALU_DEP_1)
	v_cvt_u32_f32_e32 v4, v4
	s_wait_alu 0xfffe
	v_mul_lo_u32 v7, s20, v4
	s_delay_alu instid0(VALU_DEP_1) | instskip(NEXT) | instid1(VALU_DEP_1)
	v_mul_hi_u32 v7, v4, v7
	v_add_nc_u32_e32 v4, v4, v7
	s_delay_alu instid0(VALU_DEP_1) | instskip(NEXT) | instid1(VALU_DEP_1)
	v_mul_hi_u32 v4, v5, v4
	v_mul_lo_u32 v7, v4, s18
	v_add_nc_u32_e32 v8, 1, v4
	s_delay_alu instid0(VALU_DEP_2) | instskip(NEXT) | instid1(VALU_DEP_1)
	v_sub_nc_u32_e32 v7, v5, v7
	v_subrev_nc_u32_e32 v9, s18, v7
	v_cmp_le_u32_e32 vcc_lo, s18, v7
	s_wait_alu 0xfffd
	s_delay_alu instid0(VALU_DEP_2) | instskip(NEXT) | instid1(VALU_DEP_1)
	v_dual_cndmask_b32 v7, v7, v9 :: v_dual_cndmask_b32 v4, v4, v8
	v_cmp_le_u32_e32 vcc_lo, s18, v7
	s_delay_alu instid0(VALU_DEP_2) | instskip(SKIP_1) | instid1(VALU_DEP_1)
	v_add_nc_u32_e32 v8, 1, v4
	s_wait_alu 0xfffd
	v_dual_cndmask_b32 v7, v4, v8 :: v_dual_mov_b32 v8, v3
.LBB0_6:                                ;   in Loop: Header=BB0_2 Depth=1
	s_wait_alu 0xfffe
	s_or_b32 exec_lo, exec_lo, s2
	s_load_b64 s[20:21], s[12:13], 0x0
	s_delay_alu instid0(VALU_DEP_1)
	v_mul_lo_u32 v4, v8, s18
	v_mul_lo_u32 v11, v7, s19
	v_mad_co_u64_u32 v[9:10], null, v7, s18, 0
	s_add_nc_u64 s[14:15], s[14:15], 1
	s_add_nc_u64 s[12:13], s[12:13], 8
	s_wait_alu 0xfffe
	v_cmp_ge_u64_e64 s2, s[14:15], s[6:7]
	s_add_nc_u64 s[16:17], s[16:17], 8
	s_delay_alu instid0(VALU_DEP_2) | instskip(NEXT) | instid1(VALU_DEP_3)
	v_add3_u32 v4, v10, v11, v4
	v_sub_co_u32 v5, vcc_lo, v5, v9
	s_wait_alu 0xfffd
	s_delay_alu instid0(VALU_DEP_2) | instskip(SKIP_3) | instid1(VALU_DEP_2)
	v_sub_co_ci_u32_e32 v4, vcc_lo, v6, v4, vcc_lo
	s_and_b32 vcc_lo, exec_lo, s2
	s_wait_kmcnt 0x0
	v_mul_lo_u32 v6, s21, v5
	v_mul_lo_u32 v4, s20, v4
	v_mad_co_u64_u32 v[1:2], null, s20, v5, v[1:2]
	s_delay_alu instid0(VALU_DEP_1)
	v_add3_u32 v2, v6, v2, v4
	s_wait_alu 0xfffe
	s_cbranch_vccnz .LBB0_9
; %bb.7:                                ;   in Loop: Header=BB0_2 Depth=1
	v_dual_mov_b32 v5, v7 :: v_dual_mov_b32 v6, v8
	s_branch .LBB0_2
.LBB0_8:
	v_dual_mov_b32 v8, v6 :: v_dual_mov_b32 v7, v5
.LBB0_9:
	s_lshl_b64 s[2:3], s[6:7], 3
	v_mul_hi_u32 v5, 0x15e75bc, v0
	s_wait_alu 0xfffe
	s_add_nc_u64 s[2:3], s[10:11], s[2:3]
	s_load_b64 s[2:3], s[2:3], 0x0
	s_load_b64 s[0:1], s[0:1], 0x20
	s_wait_kmcnt 0x0
	v_mul_lo_u32 v3, s2, v8
	v_mul_lo_u32 v4, s3, v7
	v_mad_co_u64_u32 v[1:2], null, s2, v7, v[1:2]
	v_cmp_gt_u64_e32 vcc_lo, s[0:1], v[7:8]
	s_delay_alu instid0(VALU_DEP_2) | instskip(SKIP_1) | instid1(VALU_DEP_2)
	v_add3_u32 v2, v4, v2, v3
	v_mul_u32_u24_e32 v4, 0xbb, v5
	v_lshlrev_b64_e32 v[2:3], 2, v[1:2]
	s_delay_alu instid0(VALU_DEP_2)
	v_sub_nc_u32_e32 v0, v0, v4
	s_and_saveexec_b32 s1, vcc_lo
	s_cbranch_execz .LBB0_13
; %bb.10:
	v_mov_b32_e32 v1, 0
	s_delay_alu instid0(VALU_DEP_3) | instskip(SKIP_2) | instid1(VALU_DEP_3)
	v_add_co_u32 v4, s0, s8, v2
	s_wait_alu 0xf1ff
	v_add_co_ci_u32_e64 v5, s0, s9, v3, s0
	v_lshlrev_b64_e32 v[6:7], 2, v[0:1]
	s_mov_b32 s2, exec_lo
	s_delay_alu instid0(VALU_DEP_1) | instskip(SKIP_1) | instid1(VALU_DEP_2)
	v_add_co_u32 v6, s0, v4, v6
	s_wait_alu 0xf1ff
	v_add_co_ci_u32_e64 v7, s0, v5, v7, s0
	s_clause 0x9
	global_load_b32 v8, v[6:7], off
	global_load_b32 v9, v[6:7], off offset:748
	global_load_b32 v10, v[6:7], off offset:1496
	;; [unrolled: 1-line block ×9, first 2 shown]
	v_lshl_add_u32 v7, v0, 2, 0
	s_delay_alu instid0(VALU_DEP_1)
	v_add_nc_u32_e32 v18, 0xb00, v7
	v_add_nc_u32_e32 v17, 0x500, v7
	;; [unrolled: 1-line block ×4, first 2 shown]
	s_wait_loadcnt 0x8
	ds_store_2addr_b32 v7, v8, v9 offset1:187
	s_wait_loadcnt 0x6
	ds_store_2addr_b32 v17, v10, v11 offset0:54 offset1:241
	s_wait_loadcnt 0x4
	ds_store_2addr_b32 v18, v12, v13 offset0:44 offset1:231
	;; [unrolled: 2-line block ×4, first 2 shown]
	v_cmpx_eq_u32_e32 0xba, v0
	s_cbranch_execz .LBB0_12
; %bb.11:
	global_load_b32 v4, v[4:5], off offset:7480
	v_mov_b32_e32 v0, 0xba
	s_wait_loadcnt 0x0
	ds_store_b32 v1, v4 offset:7480
.LBB0_12:
	s_wait_alu 0xfffe
	s_or_b32 exec_lo, exec_lo, s2
.LBB0_13:
	s_wait_alu 0xfffe
	s_or_b32 exec_lo, exec_lo, s1
	v_lshlrev_b32_e32 v1, 2, v0
	global_wb scope:SCOPE_SE
	s_wait_dscnt 0x0
	s_barrier_signal -1
	s_barrier_wait -1
	global_inv scope:SCOPE_SE
	v_add_nc_u32_e32 v20, 0, v1
	v_sub_nc_u32_e32 v6, 0, v1
	s_mov_b32 s1, exec_lo
                                        ; implicit-def: $vgpr4_vgpr5
	ds_load_u16 v9, v20
	ds_load_u16 v10, v6 offset:7480
	s_wait_dscnt 0x0
	v_add_f16_e32 v8, v10, v9
	v_sub_f16_e32 v7, v9, v10
	v_cmpx_ne_u32_e32 0, v0
	s_wait_alu 0xfffe
	s_xor_b32 s1, exec_lo, s1
	s_cbranch_execz .LBB0_15
; %bb.14:
	v_mov_b32_e32 v1, 0
	v_add_f16_e32 v8, v10, v9
	v_sub_f16_e32 v9, v9, v10
	s_delay_alu instid0(VALU_DEP_3) | instskip(NEXT) | instid1(VALU_DEP_1)
	v_lshlrev_b64_e32 v[4:5], 2, v[0:1]
	v_add_co_u32 v4, s0, s4, v4
	s_wait_alu 0xf1ff
	s_delay_alu instid0(VALU_DEP_2)
	v_add_co_ci_u32_e64 v5, s0, s5, v5, s0
	global_load_b32 v4, v[4:5], off offset:7412
	ds_load_u16 v5, v6 offset:7482
	ds_load_u16 v7, v20 offset:2
	s_wait_dscnt 0x0
	v_add_f16_e32 v10, v5, v7
	v_sub_f16_e32 v5, v7, v5
	s_wait_loadcnt 0x0
	v_lshrrev_b32_e32 v11, 16, v4
	s_delay_alu instid0(VALU_DEP_1) | instskip(NEXT) | instid1(VALU_DEP_3)
	v_fma_f16 v12, -v9, v11, v8
	v_fma_f16 v13, v10, v11, -v5
	v_fma_f16 v7, v10, v11, v5
	v_fma_f16 v8, v9, v11, v8
	s_delay_alu instid0(VALU_DEP_4) | instskip(NEXT) | instid1(VALU_DEP_4)
	v_fmac_f16_e32 v12, v4, v10
	v_fmac_f16_e32 v13, v9, v4
	s_delay_alu instid0(VALU_DEP_4) | instskip(NEXT) | instid1(VALU_DEP_4)
	v_fmac_f16_e32 v7, v9, v4
	v_fma_f16 v8, -v4, v10, v8
	v_dual_mov_b32 v5, v1 :: v_dual_mov_b32 v4, v0
	s_delay_alu instid0(VALU_DEP_4)
	v_pack_b32_f16 v9, v12, v13
	ds_store_b32 v6, v9 offset:7480
.LBB0_15:
	s_wait_alu 0xfffe
	s_and_not1_saveexec_b32 s0, s1
	s_cbranch_execz .LBB0_17
; %bb.16:
	v_mov_b32_e32 v1, 0
	ds_load_b32 v4, v1 offset:3740
	s_wait_dscnt 0x0
	v_pk_mul_f16 v9, 0xc0004000, v4
	v_mov_b32_e32 v4, 0
	v_mov_b32_e32 v5, 0
	ds_store_b32 v1, v9 offset:3740
.LBB0_17:
	s_wait_alu 0xfffe
	s_or_b32 exec_lo, exec_lo, s0
	v_lshlrev_b64_e32 v[4:5], 2, v[4:5]
	s_add_nc_u64 s[0:1], s[4:5], 0x1cf4
	s_wait_alu 0xfffe
	s_delay_alu instid0(VALU_DEP_1) | instskip(SKIP_1) | instid1(VALU_DEP_2)
	v_add_co_u32 v4, s0, s0, v4
	s_wait_alu 0xf1ff
	v_add_co_ci_u32_e64 v5, s0, s1, v5, s0
	s_mov_b32 s1, exec_lo
	s_clause 0x3
	global_load_b32 v1, v[4:5], off offset:748
	global_load_b32 v9, v[4:5], off offset:1496
	;; [unrolled: 1-line block ×4, first 2 shown]
	v_perm_b32 v5, v7, v8, 0x5040100
	ds_store_b32 v20, v5
	ds_load_b32 v5, v20 offset:748
	ds_load_b32 v7, v6 offset:6732
	s_wait_dscnt 0x1
	v_lshrrev_b32_e32 v8, 16, v5
	s_wait_dscnt 0x0
	v_lshrrev_b32_e32 v11, 16, v7
	v_add_f16_e32 v12, v5, v7
	v_sub_f16_e32 v5, v5, v7
	s_delay_alu instid0(VALU_DEP_3) | instskip(SKIP_3) | instid1(VALU_DEP_1)
	v_add_f16_e32 v7, v11, v8
	v_sub_f16_e32 v8, v8, v11
	s_wait_loadcnt 0x3
	v_lshrrev_b32_e32 v13, 16, v1
	v_fma_f16 v11, v5, v13, v12
	s_delay_alu instid0(VALU_DEP_3) | instskip(SKIP_2) | instid1(VALU_DEP_4)
	v_fma_f16 v14, v7, v13, v8
	v_fma_f16 v12, -v5, v13, v12
	v_fma_f16 v8, v7, v13, -v8
	v_fma_f16 v11, -v1, v7, v11
	s_delay_alu instid0(VALU_DEP_4) | instskip(NEXT) | instid1(VALU_DEP_4)
	v_fmac_f16_e32 v14, v5, v1
	v_fmac_f16_e32 v12, v1, v7
	s_delay_alu instid0(VALU_DEP_4) | instskip(NEXT) | instid1(VALU_DEP_3)
	v_fmac_f16_e32 v8, v5, v1
	v_pack_b32_f16 v1, v11, v14
	s_wait_loadcnt 0x2
	v_lshrrev_b32_e32 v11, 16, v9
	s_delay_alu instid0(VALU_DEP_3)
	v_pack_b32_f16 v5, v12, v8
	ds_store_b32 v20, v1 offset:748
	ds_store_b32 v6, v5 offset:6732
	ds_load_b32 v1, v20 offset:1496
	ds_load_b32 v5, v6 offset:5984
	s_wait_dscnt 0x1
	v_lshrrev_b32_e32 v7, 16, v1
	s_wait_dscnt 0x0
	v_lshrrev_b32_e32 v8, 16, v5
	v_add_f16_e32 v12, v1, v5
	v_sub_f16_e32 v1, v1, v5
	s_delay_alu instid0(VALU_DEP_3) | instskip(SKIP_1) | instid1(VALU_DEP_3)
	v_add_f16_e32 v5, v8, v7
	v_sub_f16_e32 v7, v7, v8
	v_fma_f16 v8, v1, v11, v12
	v_fma_f16 v12, -v1, v11, v12
	s_delay_alu instid0(VALU_DEP_3) | instskip(SKIP_1) | instid1(VALU_DEP_4)
	v_fma_f16 v13, v5, v11, v7
	v_fma_f16 v7, v5, v11, -v7
	v_fma_f16 v8, -v9, v5, v8
	s_delay_alu instid0(VALU_DEP_4) | instskip(NEXT) | instid1(VALU_DEP_4)
	v_fmac_f16_e32 v12, v9, v5
	v_fmac_f16_e32 v13, v1, v9
	s_delay_alu instid0(VALU_DEP_4) | instskip(SKIP_2) | instid1(VALU_DEP_3)
	v_fmac_f16_e32 v7, v1, v9
	s_wait_loadcnt 0x1
	v_lshrrev_b32_e32 v9, 16, v10
	v_pack_b32_f16 v1, v8, v13
	s_delay_alu instid0(VALU_DEP_3)
	v_pack_b32_f16 v5, v12, v7
	ds_store_b32 v20, v1 offset:1496
	ds_store_b32 v6, v5 offset:5984
	ds_load_b32 v1, v20 offset:2244
	ds_load_b32 v5, v6 offset:5236
	s_wait_dscnt 0x1
	v_lshrrev_b32_e32 v7, 16, v1
	s_wait_dscnt 0x0
	v_lshrrev_b32_e32 v8, 16, v5
	v_add_f16_e32 v11, v1, v5
	v_sub_f16_e32 v1, v1, v5
	s_delay_alu instid0(VALU_DEP_3) | instskip(SKIP_1) | instid1(VALU_DEP_3)
	v_add_f16_e32 v5, v8, v7
	v_sub_f16_e32 v7, v7, v8
	v_fma_f16 v8, v1, v9, v11
	v_fma_f16 v11, -v1, v9, v11
	s_delay_alu instid0(VALU_DEP_3) | instskip(SKIP_1) | instid1(VALU_DEP_4)
	v_fma_f16 v12, v5, v9, v7
	v_fma_f16 v7, v5, v9, -v7
	v_fma_f16 v8, -v10, v5, v8
	s_delay_alu instid0(VALU_DEP_4) | instskip(SKIP_4) | instid1(VALU_DEP_2)
	v_fmac_f16_e32 v11, v10, v5
	s_wait_loadcnt 0x0
	v_lshrrev_b32_e32 v9, 16, v4
	v_fmac_f16_e32 v12, v1, v10
	v_fmac_f16_e32 v7, v1, v10
	v_pack_b32_f16 v1, v8, v12
	s_delay_alu instid0(VALU_DEP_2)
	v_pack_b32_f16 v5, v11, v7
	ds_store_b32 v20, v1 offset:2244
	ds_store_b32 v6, v5 offset:5236
	ds_load_b32 v1, v20 offset:2992
	ds_load_b32 v5, v6 offset:4488
	v_add_nc_u32_e32 v12, 0x1000, v20
	s_wait_dscnt 0x1
	v_lshrrev_b32_e32 v7, 16, v1
	s_wait_dscnt 0x0
	v_lshrrev_b32_e32 v8, 16, v5
	v_add_f16_e32 v10, v1, v5
	v_sub_f16_e32 v1, v1, v5
	s_delay_alu instid0(VALU_DEP_3) | instskip(SKIP_1) | instid1(VALU_DEP_3)
	v_add_f16_e32 v5, v8, v7
	v_sub_f16_e32 v7, v7, v8
	v_fma_f16 v8, v1, v9, v10
	v_fma_f16 v10, -v1, v9, v10
	s_delay_alu instid0(VALU_DEP_3) | instskip(SKIP_1) | instid1(VALU_DEP_4)
	v_fma_f16 v11, v5, v9, v7
	v_fma_f16 v7, v5, v9, -v7
	v_fma_f16 v8, -v4, v5, v8
	s_delay_alu instid0(VALU_DEP_4) | instskip(NEXT) | instid1(VALU_DEP_4)
	v_fmac_f16_e32 v10, v4, v5
	v_fmac_f16_e32 v11, v1, v4
	s_delay_alu instid0(VALU_DEP_4) | instskip(SKIP_1) | instid1(VALU_DEP_3)
	v_fmac_f16_e32 v7, v1, v4
	v_add_nc_u32_e32 v1, 0x1400, v20
	v_pack_b32_f16 v4, v8, v11
	s_delay_alu instid0(VALU_DEP_3)
	v_pack_b32_f16 v5, v10, v7
	v_add_nc_u32_e32 v7, 0x1800, v20
	v_add_nc_u32_e32 v8, 0x200, v20
	ds_store_b32 v20, v4 offset:2992
	ds_store_b32 v6, v5 offset:4488
	global_wb scope:SCOPE_SE
	s_wait_dscnt 0x0
	s_barrier_signal -1
	s_barrier_wait -1
	global_inv scope:SCOPE_SE
	global_wb scope:SCOPE_SE
	s_barrier_signal -1
	s_barrier_wait -1
	global_inv scope:SCOPE_SE
	ds_load_2addr_b32 v[4:5], v20 offset1:110
	ds_load_b32 v34, v20 offset:7040
	ds_load_2addr_b32 v[6:7], v7 offset0:4 offset1:114
	ds_load_2addr_b32 v[18:19], v8 offset0:92 offset1:202
	v_add_nc_u32_e32 v10, 0x600, v20
	ds_load_2addr_b32 v[8:9], v1 offset0:40 offset1:150
	ds_load_2addr_b32 v[16:17], v10 offset0:56 offset1:166
	v_add_nc_u32_e32 v11, 0xa00, v20
	v_add_nc_u32_e32 v1, 0xc00, v20
	ds_load_2addr_b32 v[14:15], v11 offset0:20 offset1:130
	ds_load_2addr_b32 v[10:11], v12 offset0:76 offset1:186
	;; [unrolled: 1-line block ×3, first 2 shown]
	global_wb scope:SCOPE_SE
	s_wait_dscnt 0x0
	s_barrier_signal -1
	s_barrier_wait -1
	global_inv scope:SCOPE_SE
	v_lshrrev_b32_e32 v48, 16, v4
	v_pk_add_f16 v30, v5, v34 neg_lo:[0,1] neg_hi:[0,1]
	v_pk_add_f16 v38, v34, v5
	v_pk_add_f16 v29, v18, v7 neg_lo:[0,1] neg_hi:[0,1]
	v_pk_add_f16 v37, v7, v18
	v_pk_add_f16 v28, v19, v6 neg_lo:[0,1] neg_hi:[0,1]
	v_pk_mul_f16 v1, 0xb836, v30 op_sel_hi:[0,1]
	v_pk_add_f16 v36, v6, v19
	v_pk_mul_f16 v21, 0x3b29, v29 op_sel_hi:[0,1]
	v_pk_add_f16 v27, v16, v9 neg_lo:[0,1] neg_hi:[0,1]
	v_pk_mul_f16 v44, 0xbbf7, v28 op_sel_hi:[0,1]
	v_pk_fma_f16 v39, 0xbacd, v38, v1 op_sel:[0,0,1] op_sel_hi:[0,1,0]
	v_pk_fma_f16 v40, 0xbacd, v38, v1 op_sel:[0,0,1] op_sel_hi:[0,1,0] neg_lo:[0,0,1] neg_hi:[0,0,1]
	v_pk_fma_f16 v41, 0x3722, v37, v21 op_sel:[0,0,1] op_sel_hi:[0,1,0]
	v_pk_add_f16 v35, v9, v16
	v_pk_add_f16 v25, v17, v8 neg_lo:[0,1] neg_hi:[0,1]
	v_lshrrev_b32_e32 v1, 16, v39
	v_pk_mul_f16 v45, 0x3a62, v27 op_sel_hi:[0,1]
	v_pk_fma_f16 v42, 0x3722, v37, v21 op_sel:[0,0,1] op_sel_hi:[0,1,0] neg_lo:[0,0,1] neg_hi:[0,0,1]
	v_pk_fma_f16 v43, 0x2de8, v36, v44 op_sel:[0,0,1] op_sel_hi:[0,1,0]
	v_add_f16_e32 v21, v4, v40
	v_lshrrev_b32_e32 v50, 16, v41
	v_add_f16_e32 v1, v48, v1
	v_pk_add_f16 v33, v8, v17
	v_pk_add_f16 v24, v14, v11 neg_lo:[0,1] neg_hi:[0,1]
	v_pk_mul_f16 v46, 0xb5c8, v25 op_sel_hi:[0,1]
	v_pk_fma_f16 v44, 0x2de8, v36, v44 op_sel:[0,0,1] op_sel_hi:[0,1,0] neg_lo:[0,0,1] neg_hi:[0,0,1]
	v_pk_fma_f16 v47, 0xb8d2, v35, v45 op_sel:[0,0,1] op_sel_hi:[0,1,0]
	v_lshrrev_b32_e32 v51, 16, v43
	v_add_f16_e32 v21, v42, v21
	v_add_f16_e32 v1, v50, v1
	v_pk_add_f16 v32, v11, v14
	v_pk_add_f16 v23, v15, v10 neg_lo:[0,1] neg_hi:[0,1]
	v_pk_mul_f16 v49, 0xb1e1, v24 op_sel_hi:[0,1]
	v_pk_fma_f16 v50, 0xb8d2, v35, v45 op_sel:[0,0,1] op_sel_hi:[0,1,0] neg_lo:[0,0,1] neg_hi:[0,0,1]
	v_pk_fma_f16 v53, 0x3b76, v33, v46 op_sel:[0,0,1] op_sel_hi:[0,1,0]
	v_lshrrev_b32_e32 v45, 16, v47
	v_add_f16_e32 v21, v44, v21
	;; [unrolled: 8-line block ×3, first 2 shown]
	v_add_f16_e32 v1, v45, v1
	v_pk_add_f16 v26, v13, v12
	v_pk_mul_f16 v57, 0xbbb2, v22 op_sel_hi:[0,1]
	v_pk_fma_f16 v56, 0xbbdd, v32, v49 op_sel:[0,0,1] op_sel_hi:[0,1,0] neg_lo:[0,0,1] neg_hi:[0,0,1]
	v_pk_fma_f16 v52, 0x39e9, v31, v54 op_sel:[0,0,1] op_sel_hi:[0,1,0]
	v_lshrrev_b32_e32 v45, 16, v51
	v_add_f16_e32 v21, v58, v21
	v_add_f16_e32 v1, v46, v1
	v_pk_fma_f16 v55, 0x39e9, v31, v54 op_sel:[0,0,1] op_sel_hi:[0,1,0] neg_lo:[0,0,1] neg_hi:[0,0,1]
	v_pk_fma_f16 v49, 0xb461, v26, v57 op_sel:[0,0,1] op_sel_hi:[0,1,0]
	v_lshrrev_b32_e32 v46, 16, v52
	v_add_f16_e32 v21, v56, v21
	v_add_f16_e32 v1, v45, v1
	v_pk_fma_f16 v54, 0xb461, v26, v57 op_sel:[0,0,1] op_sel_hi:[0,1,0] neg_lo:[0,0,1] neg_hi:[0,0,1]
	v_lshrrev_b32_e32 v45, 16, v49
	s_delay_alu instid0(VALU_DEP_4) | instskip(NEXT) | instid1(VALU_DEP_4)
	v_add_f16_e32 v21, v55, v21
	v_add_f16_e32 v46, v46, v1
	s_delay_alu instid0(VALU_DEP_2) | instskip(NEXT) | instid1(VALU_DEP_2)
	v_add_f16_e32 v1, v54, v21
	v_add_f16_e32 v21, v45, v46
	v_cmpx_gt_u32_e32 0x6e, v0
	s_cbranch_execz .LBB0_19
; %bb.18:
	v_lshrrev_b32_e32 v73, 16, v38
	v_lshrrev_b32_e32 v74, 16, v37
	v_bfi_b32 v46, 0xffff, v39, v40
	v_bfi_b32 v44, 0xffff, v43, v44
	v_bfi_b32 v43, 0xffff, v47, v50
	v_mul_f16_e32 v57, 0xb8d2, v73
	v_lshrrev_b32_e32 v75, 16, v36
	v_mul_f16_e32 v50, 0xb461, v74
	v_bfi_b32 v45, 0xffff, v41, v42
	v_bfi_b32 v42, 0xffff, v51, v56
	v_fmamk_f16 v39, v30, 0x3a62, v57
	v_lshrrev_b32_e32 v76, 16, v35
	v_mul_f16_e32 v51, 0x3b76, v75
	v_fmamk_f16 v40, v29, 0xbbb2, v50
	v_bfi_b32 v41, 0xffff, v53, v58
	v_add_f16_e32 v47, v48, v39
	v_bfi_b32 v39, 0xffff, v52, v55
	v_lshrrev_b32_e32 v77, 16, v33
	v_mul_f16_e32 v53, 0xbacd, v76
	v_fmamk_f16 v52, v28, 0x35c8, v51
	v_add_f16_e32 v47, v40, v47
	v_bfi_b32 v40, 0xffff, v49, v54
	v_lshrrev_b32_e32 v71, 16, v32
	v_mul_f16_e32 v49, 0x2de8, v77
	v_fmamk_f16 v55, v27, 0x3836, v53
	v_add_f16_e32 v47, v52, v47
	v_lshrrev_b32_e32 v80, 16, v30
	v_mul_f16_e32 v54, 0x39e9, v71
	v_fmamk_f16 v52, v25, 0xbbf7, v49
	v_lshrrev_b32_e32 v81, 16, v29
	v_add_f16_e32 v47, v55, v47
	v_mul_f16_e32 v61, 0xba62, v80
	v_fmamk_f16 v56, v24, 0x3964, v54
	v_lshrrev_b32_e32 v82, 16, v28
	v_mul_f16_e32 v63, 0x3bb2, v81
	v_add_f16_e32 v47, v52, v47
	v_fmamk_f16 v58, v38, 0xb8d2, v61
	v_lshrrev_b32_e32 v83, 16, v27
	v_mul_f16_e32 v62, 0xb5c8, v82
	v_mul_f16_e32 v64, 0xb461, v73
	v_add_f16_e32 v47, v56, v47
	v_fmamk_f16 v56, v37, 0xb461, v63
	v_add_f16_e32 v58, v4, v58
	v_lshrrev_b32_e32 v72, 16, v31
	v_mul_f16_e32 v70, 0xb836, v83
	v_fmamk_f16 v59, v30, 0x3bb2, v64
	v_mul_f16_e32 v65, 0xbacd, v74
	v_add_f16_e32 v56, v56, v58
	v_fmamk_f16 v58, v36, 0x3b76, v62
	v_mul_f16_e32 v55, 0xbbdd, v72
	v_lshrrev_b32_e32 v87, 16, v25
	v_add_f16_e32 v59, v48, v59
	v_fmamk_f16 v60, v29, 0xb836, v65
	v_add_f16_e32 v56, v58, v56
	v_fmamk_f16 v58, v35, 0xbacd, v70
	v_mul_f16_e32 v66, 0x39e9, v75
	v_fmamk_f16 v52, v23, 0x31e1, v55
	v_lshrrev_b32_e32 v78, 16, v26
	v_mul_f16_e32 v67, 0x3bf7, v87
	v_add_f16_e32 v56, v58, v56
	v_lshrrev_b32_e32 v86, 16, v24
	v_add_f16_e32 v58, v60, v59
	v_fmamk_f16 v59, v28, 0xb964, v66
	v_mul_f16_e32 v60, 0x3722, v76
	v_add_f16_e32 v47, v52, v47
	v_mul_f16_e32 v52, 0x3722, v78
	v_fmamk_f16 v69, v33, 0x2de8, v67
	v_mul_f16_e32 v68, 0xb964, v86
	v_lshrrev_b32_e32 v79, 16, v23
	v_add_f16_e32 v59, v59, v58
	v_fmamk_f16 v85, v27, 0x3b29, v60
	v_mul_f16_e32 v58, 0xbbdd, v77
	v_fmamk_f16 v84, v22, 0xbb29, v52
	v_add_f16_e32 v56, v69, v56
	v_fmamk_f16 v88, v32, 0x39e9, v68
	v_mul_f16_e32 v69, 0xb1e1, v79
	v_add_f16_e32 v85, v85, v59
	v_fmamk_f16 v89, v25, 0x31e1, v58
	v_mul_f16_e32 v59, 0x2de8, v71
	v_add_f16_e32 v47, v84, v47
	v_add_f16_e32 v88, v88, v56
	v_fmamk_f16 v90, v31, 0xbbdd, v69
	v_add_f16_e32 v85, v89, v85
	v_fmamk_f16 v89, v24, 0xbbf7, v59
	v_mul_f16_e32 v56, 0x3b76, v72
	v_lshrrev_b32_e32 v84, 16, v22
	v_pk_add_f16 v5, v4, v5
	v_add_f16_e32 v88, v90, v88
	v_add_f16_e32 v85, v89, v85
	v_fmamk_f16 v89, v23, 0x35c8, v56
	v_mul_f16_e32 v90, 0x3b29, v84
	v_mul_f16_e32 v91, 0xbbb2, v80
	v_pk_add_f16 v5, v5, v18
	v_mul_f16_e32 v93, 0x3836, v81
	v_add_f16_e32 v18, v89, v85
	v_fmamk_f16 v85, v26, 0x3722, v90
	v_fmamk_f16 v89, v38, 0xb461, v91
	v_pk_add_f16 v19, v5, v19
	v_mul_f16_e32 v95, 0x3964, v82
	v_mul_f16_e32 v96, 0xbbdd, v74
	v_add_f16_e32 v5, v85, v88
	v_mul_f16_e32 v88, 0x2de8, v73
	v_add_f16_e32 v85, v4, v89
	v_fmamk_f16 v89, v37, 0xbacd, v93
	v_pk_add_f16 v16, v19, v16
	v_mul_f16_e32 v97, 0xbb29, v83
	v_fmamk_f16 v19, v30, 0x3bf7, v88
	v_fmamk_f16 v98, v29, 0x31e1, v96
	v_add_f16_e32 v85, v89, v85
	v_fmamk_f16 v89, v36, 0x39e9, v95
	v_mul_f16_e32 v99, 0xb461, v75
	v_add_f16_e32 v19, v48, v19
	v_mul_f16_e32 v100, 0xb1e1, v87
	v_mul_f16_e32 v101, 0x3b76, v76
	v_add_f16_e32 v85, v89, v85
	v_fmamk_f16 v89, v35, 0x3722, v97
	v_add_f16_e32 v19, v98, v19
	v_fmamk_f16 v98, v28, 0xbbb2, v99
	v_mul_f16_e32 v102, 0x3bf7, v86
	v_mul_f16_e32 v103, 0x3722, v77
	v_add_f16_e32 v85, v89, v85
	v_fmamk_f16 v89, v33, 0xbbdd, v100
	v_add_f16_e32 v19, v98, v19
	v_fmamk_f16 v98, v27, 0xb5c8, v101
	;; [unrolled: 6-line block ×3, first 2 shown]
	v_mul_f16_e32 v105, 0xbacd, v71
	v_fmamk_f16 v106, v31, 0x3b76, v104
	v_add_f16_e32 v89, v89, v85
	v_mul_f16_e32 v107, 0xba62, v84
	v_mul_f16_e32 v109, 0xbbf7, v80
	v_fmamk_f16 v94, v22, 0x3a62, v92
	v_add_f16_e32 v19, v98, v19
	v_fmamk_f16 v98, v24, 0x3836, v105
	v_mul_f16_e32 v108, 0xb8d2, v72
	v_pk_add_f16 v85, v16, v17
	v_add_f16_e32 v17, v106, v89
	v_fmamk_f16 v89, v26, 0xb8d2, v107
	v_fmamk_f16 v106, v38, 0x2de8, v109
	v_mul_f16_e32 v110, 0xb1e1, v81
	v_add_f16_e32 v19, v98, v19
	v_fmamk_f16 v98, v23, 0xba62, v108
	v_mul_f16_e32 v111, 0x39e9, v78
	v_add_f16_e32 v16, v94, v18
	v_add_f16_e32 v17, v89, v17
	;; [unrolled: 1-line block ×3, first 2 shown]
	v_fmamk_f16 v89, v37, 0xbbdd, v110
	v_mul_f16_e32 v94, 0x3bb2, v82
	v_add_f16_e32 v19, v98, v19
	v_fmamk_f16 v98, v22, 0xb964, v111
	v_mul_f16_e32 v106, 0x3722, v73
	v_add_f16_e32 v89, v89, v18
	;; [unrolled: 3-line block ×16, first 2 shown]
	v_fmamk_f16 v127, v37, 0xb8d2, v112
	v_mul_f16_e64 v128, 0x31e1, v82
	v_add_f16_e32 v115, v124, v115
	v_fmamk_f16 v124, v22, 0x3836, v126
	v_mul_f16_e32 v73, 0x39e9, v73
	v_add_f16_e32 v89, v127, v89
	v_fma_f16 v127, 0xbbdd, v36, v128
	v_mul_f16_e64 v129, 0x3bb2, v83
	v_add_f16_e32 v115, v124, v115
	v_fmamk_f16 v124, v30, 0x3964, v73
	v_mul_f16_e32 v74, 0x2de8, v74
	v_add_f16_e32 v89, v127, v89
	v_fma_f16 v127, 0xb461, v35, v129
	v_mul_f16_e64 v130, 0x3964, v87
	v_add_f16_e32 v124, v48, v124
	v_fma_f16 v131, 0x3bf7, v29, v74
	v_mul_f16_e32 v75, 0xb8d2, v75
	v_add_f16_e32 v89, v127, v89
	v_fma_f16 v127, 0x39e9, v33, v130
	v_mul_f16_e64 v132, 0xb5c8, v86
	v_add_f16_e64 v124, v131, v124
	v_fma_f16 v131, 0x3a62, v28, v75
	v_mul_f16_e32 v76, 0xbbdd, v76
	v_add_f16_e32 v89, v127, v89
	v_fma_f16 v127, 0x3b76, v32, v132
	v_mul_f16_e64 v133, 0xbbf7, v79
	v_add_f16_e64 v124, v131, v124
	v_fma_f16 v131, 0x31e1, v27, v76
	v_mul_f16_e32 v77, 0xbacd, v77
	v_add_f16_e32 v89, v127, v89
	v_fma_f16 v127, 0x2de8, v31, v133
	v_mul_f16_e32 v80, 0xb964, v80
	v_fmac_f16_e32 v57, 0xba62, v30
	v_add_f16_e64 v124, v131, v124
	v_fma_f16 v131, 0xb836, v25, v77
	v_mul_f16_e32 v71, 0xb461, v71
	v_add_f16_e32 v89, v127, v89
	v_fmamk_f16 v127, v38, 0x39e9, v80
	v_mul_f16_e32 v81, 0xbbf7, v81
	v_add_f16_e32 v57, v48, v57
	v_fmac_f16_e32 v50, 0x3bb2, v29
	v_fma_f16 v61, v38, 0xb8d2, -v61
	v_add_f16_e64 v124, v131, v124
	v_fma_f16 v131, 0xbbb2, v24, v71
	v_mul_f16_e32 v72, 0x3722, v72
	v_add_f16_e32 v127, v4, v127
	v_fma_f16 v134, 0x2de8, v37, v81
	v_mul_f16_e32 v82, 0xba62, v82
	v_add_f16_e32 v50, v50, v57
	v_fmac_f16_e32 v51, 0xb5c8, v28
	v_add_f16_e32 v57, v4, v61
	v_fma_f16 v61, v37, 0xb461, -v63
	v_add_f16_e64 v124, v131, v124
	v_fma_f16 v131, 0xbb29, v23, v72
	v_add_f16_e64 v127, v134, v127
	v_fma_f16 v134, 0xb8d2, v36, v82
	v_mul_f16_e32 v83, 0xb1e1, v83
	v_add_f16_e32 v50, v51, v50
	v_fmac_f16_e32 v53, 0xb836, v27
	v_add_f16_e32 v51, v61, v57
	v_fma_f16 v57, v36, 0x3b76, -v62
	v_add_f16_e64 v124, v131, v124
	v_add_f16_e64 v127, v134, v127
	v_fma_f16 v131, 0xbbdd, v35, v83
	v_mul_f16_e32 v87, 0x3836, v87
	v_add_f16_e32 v50, v53, v50
	v_fmac_f16_e32 v49, 0x3bf7, v25
	v_add_f16_e32 v51, v57, v51
	v_fma_f16 v53, v35, 0xbacd, -v70
	v_fmac_f16_e32 v64, 0xbbb2, v30
	v_add_f16_e64 v127, v131, v127
	v_fma_f16 v131, 0xbacd, v33, v87
	v_mul_f16_e32 v86, 0x3bb2, v86
	v_add_f16_e32 v49, v49, v50
	v_fmac_f16_e32 v54, 0xb964, v24
	v_add_f16_e32 v50, v53, v51
	v_fma_f16 v51, v33, 0x2de8, -v67
	v_add_f16_e32 v53, v48, v64
	v_fmac_f16_e32 v65, 0x3836, v29
	v_add_f16_e64 v127, v131, v127
	v_fma_f16 v131, 0xb461, v32, v86
	v_mul_f16_e32 v79, 0x3b29, v79
	v_add_f16_e32 v49, v54, v49
	v_fmac_f16_e32 v55, 0xb1e1, v23
	v_add_f16_e32 v50, v51, v50
	v_fma_f16 v51, v32, 0x39e9, -v68
	v_add_f16_e32 v53, v65, v53
	v_fmac_f16_e32 v66, 0x3964, v28
	v_add_f16_e64 v63, v131, v127
	v_fmamk_f16 v127, v31, 0x3722, v79
	v_mul_f16_e32 v62, 0x35c8, v84
	v_add_f16_e32 v49, v55, v49
	v_fmac_f16_e32 v52, 0x3b29, v22
	v_add_f16_e32 v50, v51, v50
	v_fma_f16 v51, v31, 0xbbdd, -v69
	v_add_f16_e32 v53, v66, v53
	v_fmac_f16_e32 v60, 0xbb29, v27
	v_fma_f16 v55, v38, 0xb461, -v91
	v_add_f16_e32 v61, v127, v63
	v_fmamk_f16 v57, v26, 0x3b76, v62
	v_add_f16_e32 v49, v52, v49
	v_add_f16_e32 v50, v51, v50
	v_add_f16_e32 v51, v60, v53
	v_fmac_f16_e32 v58, 0xb1e1, v25
	v_add_f16_e32 v52, v4, v55
	v_fma_f16 v53, v37, 0xbacd, -v93
	v_fmac_f16_e32 v88, 0xbbf7, v30
	v_add_f16_e32 v54, v57, v61
	v_fma_f16 v55, v26, 0x3722, -v90
	v_add_f16_e32 v51, v58, v51
	v_fmac_f16_e32 v59, 0x3bf7, v24
	v_add_f16_e32 v52, v53, v52
	v_fma_f16 v53, v36, 0x39e9, -v95
	v_add_f16_e32 v57, v48, v88
	v_fmac_f16_e32 v96, 0xb1e1, v29
	v_add_f16_e32 v51, v59, v51
	v_fmac_f16_e32 v56, 0xb5c8, v23
	v_add_f16_e32 v52, v53, v52
	v_fma_f16 v53, v35, 0x3722, -v97
	v_add_f16_e32 v57, v96, v57
	v_fmac_f16_e32 v99, 0x3bb2, v28
	v_add_f16_e32 v50, v55, v50
	v_fma_f16 v55, v38, 0x2de8, -v109
	v_add_f16_e32 v51, v56, v51
	v_add_f16_e32 v52, v53, v52
	;; [unrolled: 1-line block ×3, first 2 shown]
	v_fma_f16 v56, v33, 0xbbdd, -v100
	v_add_f16_e32 v55, v4, v55
	v_fma_f16 v57, v37, 0xbbdd, -v110
	v_fmac_f16_e32 v106, 0xbb29, v30
	v_fmac_f16_e32 v98, 0xba62, v29
	v_add_f16_e32 v52, v56, v52
	v_fma_f16 v56, v32, 0x2de8, -v102
	v_add_f16_e32 v55, v57, v55
	v_fma_f16 v57, v36, 0xb461, -v94
	v_add_f16_e32 v58, v48, v106
	v_pk_mul_f16 v59, 0xb5c8, v30 op_sel_hi:[0,1]
	v_add_f16_e32 v52, v56, v52
	v_fma_f16 v56, v31, 0x3b76, -v104
	v_add_f16_e32 v55, v57, v55
	v_fma_f16 v57, v35, 0x3b76, -v113
	v_fma_f16 v65, v35, 0xb461, -v129
	v_pk_add_f16 v14, v85, v14
	v_add_f16_e32 v52, v56, v52
	v_fma_f16 v56, v33, 0x3722, -v114
	v_add_f16_e32 v55, v57, v55
	v_fma_f16 v57, v26, 0xb8d2, -v107
	v_pk_mul_f16 v60, 0xb964, v29 op_sel_hi:[0,1]
	v_fma_f16 v67, v33, 0x39e9, -v130
	v_pk_add_f16 v14, v14, v15
	v_add_f16_e32 v55, v56, v55
	v_fma_f16 v56, v32, 0xbacd, -v117
	v_add_f16_e32 v52, v57, v52
	v_add_f16_e32 v57, v98, v58
	v_fma_f16 v58, v38, 0x3722, -v123
	v_pk_fma_f16 v15, 0x3b76, v38, v59 op_sel:[0,0,1] op_sel_hi:[0,1,0]
	v_add_f16_e32 v55, v56, v55
	v_fma_f16 v56, v31, 0xb8d2, -v119
	v_pk_fma_f16 v59, 0x3b76, v38, v59 op_sel:[0,0,1] op_sel_hi:[0,1,0] neg_lo:[0,0,1] neg_hi:[0,0,1]
	v_pk_mul_f16 v61, 0xbb29, v28 op_sel_hi:[0,1]
	v_pk_add_f16 v12, v14, v12
	v_pk_fma_f16 v69, 0x39e9, v37, v60 op_sel:[0,0,1] op_sel_hi:[0,1,0]
	v_add_f16_e32 v55, v56, v55
	v_fma_f16 v56, v26, 0x39e9, -v121
	v_bfi_b32 v14, 0xffff, v15, v59
	v_pk_fma_f16 v60, 0x39e9, v37, v60 op_sel:[0,0,1] op_sel_hi:[0,1,0] neg_lo:[0,0,1] neg_hi:[0,0,1]
	v_mul_f16_e64 v135, 0xb836, v84
	v_pk_mul_f16 v63, 0xbbf7, v27 op_sel_hi:[0,1]
	v_add_f16_e32 v55, v56, v55
	v_add_f16_e32 v56, v4, v58
	v_fma_f16 v58, v37, 0xb8d2, -v112
	v_pk_add_f16 v12, v12, v13
	v_pk_add_f16 v13, v4, v14
	v_bfi_b32 v14, 0xffff, v69, v60
	v_pk_fma_f16 v70, 0x3722, v36, v61 op_sel:[0,0,1] op_sel_hi:[0,1,0]
	v_add_f16_e32 v56, v58, v56
	v_fma_f16 v58, v36, 0xbbdd, -v128
	v_pk_fma_f16 v61, 0x3722, v36, v61 op_sel:[0,0,1] op_sel_hi:[0,1,0] neg_lo:[0,0,1] neg_hi:[0,0,1]
	v_pk_mul_f16 v64, 0xbbb2, v25 op_sel_hi:[0,1]
	v_fma_f16 v68, v38, 0x39e9, -v80
	v_pk_add_f16 v10, v12, v10
	v_add_f16_e32 v56, v58, v56
	v_pk_add_f16 v12, v14, v13
	v_bfi_b32 v13, 0xffff, v70, v61
	v_pk_fma_f16 v14, 0x2de8, v35, v63 op_sel:[0,0,1] op_sel_hi:[0,1,0]
	v_pk_fma_f16 v63, 0x2de8, v35, v63 op_sel:[0,0,1] op_sel_hi:[0,1,0] neg_lo:[0,0,1] neg_hi:[0,0,1]
	v_add_f16_e32 v56, v65, v56
	v_pk_mul_f16 v58, 0xba62, v24 op_sel_hi:[0,1]
	v_pk_add_f16 v10, v10, v11
	v_pk_add_f16 v11, v13, v12
	v_bfi_b32 v12, 0xffff, v14, v63
	v_add_f16_e32 v56, v67, v56
	v_fma_f16 v67, v32, 0x3b76, -v132
	v_pk_fma_f16 v13, 0xb461, v33, v64 op_sel:[0,0,1] op_sel_hi:[0,1,0]
	v_pk_fma_f16 v64, 0xb461, v33, v64 op_sel:[0,0,1] op_sel_hi:[0,1,0] neg_lo:[0,0,1] neg_hi:[0,0,1]
	v_pk_mul_f16 v66, 0xb836, v23 op_sel_hi:[0,1]
	v_pk_add_f16 v8, v10, v8
	v_add_f16_e32 v56, v67, v56
	v_fma_f16 v67, v31, 0x2de8, -v133
	v_pk_add_f16 v10, v12, v11
	v_bfi_b32 v11, 0xffff, v13, v64
	v_pk_fma_f16 v12, 0xb8d2, v32, v58 op_sel:[0,0,1] op_sel_hi:[0,1,0]
	v_pk_fma_f16 v58, 0xb8d2, v32, v58 op_sel:[0,0,1] op_sel_hi:[0,1,0] neg_lo:[0,0,1] neg_hi:[0,0,1]
	v_add_f16_e32 v56, v67, v56
	v_fma_f16 v67, v26, 0xbacd, -v135
	v_pk_mul_f16 v65, 0xb1e1, v22 op_sel_hi:[0,1]
	v_pk_add_f16 v8, v8, v9
	v_pk_add_f16 v9, v11, v10
	v_bfi_b32 v10, 0xffff, v12, v58
	v_add_f16_e32 v56, v67, v56
	v_add_f16_e32 v67, v4, v68
	v_fma_f16 v68, v37, 0x2de8, -v81
	v_pk_fma_f16 v11, 0xbacd, v31, v66 op_sel:[0,0,1] op_sel_hi:[0,1,0]
	v_pk_fma_f16 v66, 0xbacd, v31, v66 op_sel:[0,0,1] op_sel_hi:[0,1,0] neg_lo:[0,0,1] neg_hi:[0,0,1]
	v_pk_add_f16 v6, v8, v6
	v_pk_add_f16 v8, v10, v9
	v_add_f16_e32 v67, v68, v67
	v_fma_f16 v68, v36, 0xb8d2, -v82
	v_bfi_b32 v9, 0xffff, v11, v66
	v_pk_fma_f16 v10, 0xbbdd, v26, v65 op_sel:[0,0,1] op_sel_hi:[0,1,0]
	v_pk_fma_f16 v65, 0xbbdd, v26, v65 op_sel:[0,0,1] op_sel_hi:[0,1,0] neg_lo:[0,0,1] neg_hi:[0,0,1]
	v_pk_mul_f16 v38, 0xbbdd, v38 op_sel_hi:[0,1]
	v_add_f16_e32 v67, v68, v67
	v_fma_f16 v68, v35, 0xbbdd, -v83
	v_pk_add_f16 v6, v6, v7
	v_pk_add_f16 v7, v9, v8
	v_bfi_b32 v8, 0xffff, v10, v65
	v_pk_add_f16 v9, v4, v46
	v_add_f16_e32 v67, v68, v67
	v_fma_f16 v68, v33, 0xbacd, -v87
	v_pk_fma_f16 v46, 0xb1e1, v30, v38 op_sel:[0,0,1] op_sel_hi:[0,1,0]
	v_pk_mul_f16 v37, 0x3b76, v37 op_sel_hi:[0,1]
	v_pk_add_f16 v6, v6, v34
	v_pk_add_f16 v7, v8, v7
	v_add_f16_e32 v67, v68, v67
	v_fma_f16 v68, v32, 0xb461, -v86
	v_pk_add_f16 v8, v45, v9
	s_wait_alu 0xf1ff
	v_alignbit_b32 v9, s0, v46, 16
	v_pk_fma_f16 v34, 0x35c8, v29, v37 op_sel:[0,0,1] op_sel_hi:[0,1,0]
	v_pk_mul_f16 v36, 0xbacd, v36 op_sel_hi:[0,1]
	v_add_f16_e32 v67, v68, v67
	v_fma_f16 v68, v31, 0x3722, -v79
	v_pk_add_f16 v8, v44, v8
	v_pk_add_f16 v9, v4, v9
	v_alignbit_b32 v44, s0, v34, 16
	v_pk_mul_f16 v35, 0x39e9, v35 op_sel_hi:[0,1]
	v_add_f16_e32 v67, v68, v67
	v_pk_fma_f16 v68, 0xb836, v28, v36 op_sel:[0,0,1] op_sel_hi:[0,1,0]
	v_pk_add_f16 v8, v43, v8
	v_pk_add_f16 v9, v44, v9
	v_pk_fma_f16 v44, 0x3964, v27, v35 op_sel:[0,0,1] op_sel_hi:[0,1,0]
	v_pack_b32_f16 v16, v17, v16
	v_alignbit_b32 v43, s0, v68, 16
	v_pk_mul_f16 v17, 0xb8d2, v33 op_sel_hi:[0,1]
	v_fmac_f16_e32 v73, 0xb964, v30
	v_alignbit_b32 v33, s0, v44, 16
	v_pk_fma_f16 v30, 0xb1e1, v30, v38 op_sel:[0,0,1] op_sel_hi:[0,1,0] neg_lo:[0,1,0] neg_hi:[0,1,0]
	v_pk_add_f16 v9, v43, v9
	v_fmac_f16_e32 v74, 0xbbf7, v29
	v_pk_fma_f16 v29, 0x35c8, v29, v37 op_sel:[0,0,1] op_sel_hi:[0,1,0] neg_lo:[0,1,0] neg_hi:[0,1,0]
	v_add_f16_e32 v48, v48, v73
	v_pk_add_f16 v30, v4, v30 op_sel:[1,0] op_sel_hi:[0,1]
	v_pk_add_f16 v9, v33, v9
	v_alignbit_b32 v33, s0, v4, 16
	v_bfi_b32 v15, 0xffff, v59, v15
	v_fmac_f16_e32 v116, 0x31e1, v28
	v_fmac_f16_e32 v75, 0xba62, v28
	v_pk_add_f16 v29, v29, v30
	v_pk_add_f16 v33, v33, v46
	v_pk_fma_f16 v28, 0xb836, v28, v36 op_sel:[0,0,1] op_sel_hi:[0,1,0] neg_lo:[0,1,0] neg_hi:[0,1,0]
	v_add_f16_e32 v48, v74, v48
	v_pk_add_f16 v4, v4, v15
	v_bfi_b32 v15, 0xffff, v60, v69
	v_pk_add_f16 v33, v34, v33
	v_fmac_f16_e32 v101, 0x35c8, v27
	v_fmac_f16_e32 v118, 0x3bb2, v27
	;; [unrolled: 1-line block ×3, first 2 shown]
	v_pack_b32_f16 v18, v19, v18
	v_pk_fma_f16 v19, 0xba62, v25, v17 op_sel:[0,0,1] op_sel_hi:[0,1,0]
	v_pk_mul_f16 v32, 0x3722, v32 op_sel_hi:[0,1]
	v_pk_add_f16 v33, v68, v33
	v_pk_add_f16 v28, v28, v29
	v_pk_fma_f16 v27, 0x3964, v27, v35 op_sel:[0,0,1] op_sel_hi:[0,1,0] neg_lo:[0,1,0] neg_hi:[0,1,0]
	v_add_f16_e32 v57, v116, v57
	v_add_f16_e32 v48, v75, v48
	v_pk_add_f16 v4, v15, v4
	v_bfi_b32 v15, 0xffff, v61, v70
	v_mul_f16_e32 v78, 0x3b76, v78
	v_pk_add_f16 v8, v41, v8
	v_alignbit_b32 v38, s0, v19, 16
	v_pk_fma_f16 v41, 0x3b29, v24, v32 op_sel:[0,0,1] op_sel_hi:[0,1,0]
	v_pk_mul_f16 v31, 0xb461, v31 op_sel_hi:[0,1]
	v_pk_add_f16 v29, v44, v33
	v_pk_add_f16 v27, v27, v28
	v_pk_fma_f16 v17, 0xba62, v25, v17 op_sel:[0,0,1] op_sel_hi:[0,1,0] neg_lo:[0,1,0] neg_hi:[0,1,0]
	v_add_f16_e32 v53, v101, v53
	v_fmac_f16_e32 v103, 0xbb29, v25
	v_add_f16_e32 v57, v118, v57
	v_fmac_f16_e32 v120, 0x3964, v25
	;; [unrolled: 2-line block ×3, first 2 shown]
	v_pk_add_f16 v4, v15, v4
	v_bfi_b32 v14, 0xffff, v63, v14
	v_fma_f16 v136, 0xbacd, v26, v135
	v_fma_f16 v134, 0xb5c8, v22, v78
	v_fmac_f16_e32 v105, 0xb836, v24
	v_fmac_f16_e32 v122, 0xb5c8, v24
	;; [unrolled: 1-line block ×3, first 2 shown]
	v_pk_add_f16 v9, v38, v9
	v_alignbit_b32 v37, s0, v41, 16
	v_pk_fma_f16 v38, 0xbbb2, v23, v31 op_sel:[0,0,1] op_sel_hi:[0,1,0]
	v_pk_mul_f16 v25, 0x2de8, v26 op_sel_hi:[0,1]
	v_pk_add_f16 v19, v19, v29
	v_pk_add_f16 v17, v17, v27
	v_pk_fma_f16 v24, 0x3b29, v24, v32 op_sel:[0,0,1] op_sel_hi:[0,1,0] neg_lo:[0,1,0] neg_hi:[0,1,0]
	v_add_f16_e32 v53, v103, v53
	v_pk_add_f16 v8, v42, v8
	v_add_f16_e32 v57, v120, v57
	v_add_f16_e32 v48, v77, v48
	v_fma_f16 v62, v26, 0x3b76, -v62
	v_pk_add_f16 v4, v14, v4
	v_bfi_b32 v13, 0xffff, v64, v13
	v_add_f16_e64 v89, v136, v89
	v_add_f16_e64 v124, v134, v124
	v_fmac_f16_e32 v108, 0x3a62, v23
	v_fmac_f16_e32 v125, 0xbbf7, v23
	;; [unrolled: 1-line block ×3, first 2 shown]
	v_pk_add_f16 v9, v37, v9
	v_alignbit_b32 v30, s0, v38, 16
	v_pk_fma_f16 v26, 0x3bf7, v22, v25 op_sel:[0,0,1] op_sel_hi:[0,1,0]
	v_pk_add_f16 v19, v41, v19
	v_pk_add_f16 v17, v24, v17
	v_pk_fma_f16 v23, 0xbbb2, v23, v31 op_sel:[0,0,1] op_sel_hi:[0,1,0] neg_lo:[0,1,0] neg_hi:[0,1,0]
	v_add_f16_e32 v53, v105, v53
	v_pk_add_f16 v8, v39, v8
	v_add_f16_e32 v57, v122, v57
	v_add_f16_e32 v48, v71, v48
	;; [unrolled: 1-line block ×3, first 2 shown]
	v_lshl_add_u32 v67, v0, 6, v20
	v_pk_add_f16 v4, v13, v4
	v_bfi_b32 v12, 0xffff, v58, v12
	v_fmac_f16_e32 v92, 0xba62, v22
	v_fmac_f16_e32 v111, 0x3964, v22
	;; [unrolled: 1-line block ×4, first 2 shown]
	v_pack_b32_f16 v45, v89, v115
	v_pack_b32_f16 v54, v54, v124
	v_pk_add_f16 v9, v30, v9
	v_alignbit_b32 v15, s0, v26, 16
	v_pk_add_f16 v19, v38, v19
	v_pk_add_f16 v17, v23, v17
	v_pk_fma_f16 v22, 0x3bf7, v22, v25 op_sel:[0,0,1] op_sel_hi:[0,1,0] neg_lo:[0,1,0] neg_hi:[0,1,0]
	v_add_f16_e32 v53, v108, v53
	v_pk_add_f16 v8, v40, v8
	v_pack_b32_f16 v5, v5, v47
	v_add_f16_e32 v57, v125, v57
	v_add_f16_e32 v48, v72, v48
	ds_store_2addr_b32 v67, v6, v7 offset1:1
	ds_store_2addr_b32 v67, v54, v45 offset0:2 offset1:3
	ds_store_2addr_b32 v67, v18, v16 offset0:4 offset1:5
	ds_store_2addr_b32 v67, v5, v8 offset0:6 offset1:7
	v_pk_add_f16 v4, v12, v4
	v_bfi_b32 v5, 0xffff, v66, v11
	v_pk_add_f16 v9, v15, v9
	v_pk_add_f16 v14, v26, v19
	;; [unrolled: 1-line block ×3, first 2 shown]
	v_add_f16_e32 v51, v92, v51
	v_add_f16_e32 v53, v111, v53
	;; [unrolled: 1-line block ×4, first 2 shown]
	v_pk_add_f16 v4, v5, v4
	v_bfi_b32 v5, 0xffff, v65, v10
	v_alignbit_b32 v6, v14, v15, 16
	v_pack_b32_f16 v7, v9, v15
	v_pack_b32_f16 v8, v50, v49
	v_perm_b32 v9, v21, v1, 0x5040100
	v_pack_b32_f16 v10, v55, v53
	v_pack_b32_f16 v11, v52, v51
	;; [unrolled: 1-line block ×4, first 2 shown]
	v_pk_add_f16 v4, v5, v4
	ds_store_2addr_b32 v67, v7, v6 offset0:8 offset1:9
	ds_store_2addr_b32 v67, v9, v8 offset0:10 offset1:11
	;; [unrolled: 1-line block ×4, first 2 shown]
	ds_store_b32 v67, v4 offset:64
.LBB0_19:
	s_wait_alu 0xfffe
	s_or_b32 exec_lo, exec_lo, s1
	v_and_b32_e32 v4, 0xff, v0
	global_wb scope:SCOPE_SE
	s_wait_dscnt 0x0
	s_barrier_signal -1
	s_barrier_wait -1
	global_inv scope:SCOPE_SE
	v_mul_lo_u16 v4, 0xf1, v4
	v_add_nc_u32_e32 v14, 0x1100, v20
	v_add_nc_u32_e32 v16, 0x1700, v20
	;; [unrolled: 1-line block ×4, first 2 shown]
	v_lshrrev_b16 v24, 12, v4
	v_cmp_gt_u32_e64 s0, 0xaa, v0
	s_delay_alu instid0(VALU_DEP_2) | instskip(SKIP_1) | instid1(VALU_DEP_2)
	v_mul_lo_u16 v4, v24, 17
	v_and_b32_e32 v24, 0xffff, v24
	v_sub_nc_u16 v4, v0, v4
	s_delay_alu instid0(VALU_DEP_2) | instskip(NEXT) | instid1(VALU_DEP_2)
	v_mul_u32_u24_e32 v24, 0x2a8, v24
	v_and_b32_e32 v25, 0xff, v4
	s_delay_alu instid0(VALU_DEP_1) | instskip(SKIP_1) | instid1(VALU_DEP_2)
	v_mul_u32_u24_e32 v4, 9, v25
	v_lshlrev_b32_e32 v25, 2, v25
	v_lshlrev_b32_e32 v12, 2, v4
	s_delay_alu instid0(VALU_DEP_2)
	v_add3_u32 v37, 0, v24, v25
	s_clause 0x2
	global_load_b128 v[4:7], v12, s[4:5]
	global_load_b128 v[8:11], v12, s[4:5] offset:16
	global_load_b32 v26, v12, s[4:5] offset:32
	ds_load_2addr_b32 v[12:13], v20 offset1:187
	ds_load_2addr_b32 v[14:15], v14 offset0:34 offset1:221
	ds_load_2addr_b32 v[16:17], v16 offset0:24 offset1:211
	;; [unrolled: 1-line block ×4, first 2 shown]
	global_wb scope:SCOPE_SE
	s_wait_loadcnt_dscnt 0x0
	s_barrier_signal -1
	s_barrier_wait -1
	global_inv scope:SCOPE_SE
	v_lshrrev_b32_e32 v31, 16, v16
	v_lshrrev_b32_e32 v28, 16, v13
	;; [unrolled: 1-line block ×19, first 2 shown]
	v_mul_f16_e32 v45, v24, v28
	v_mul_f16_e32 v24, v24, v13
	;; [unrolled: 1-line block ×18, first 2 shown]
	v_fmac_f16_e32 v45, v4, v13
	v_fma_f16 v13, v4, v28, -v24
	v_fmac_f16_e32 v46, v5, v18
	v_fma_f16 v4, v5, v33, -v25
	;; [unrolled: 2-line block ×8, first 2 shown]
	v_fma_f16 v11, v32, v26, -v44
	v_fmac_f16_e32 v53, v17, v26
	v_add_f16_e32 v14, v12, v46
	v_add_f16_e32 v15, v48, v50
	v_sub_f16_e32 v18, v46, v48
	v_sub_f16_e32 v19, v52, v50
	v_add_f16_e32 v22, v46, v52
	v_sub_f16_e32 v23, v48, v46
	v_sub_f16_e32 v28, v46, v52
	;; [unrolled: 1-line block ×4, first 2 shown]
	v_add_f16_e32 v44, v13, v5
	v_add_f16_e32 v46, v7, v9
	;; [unrolled: 1-line block ×3, first 2 shown]
	v_sub_f16_e32 v24, v50, v52
	v_add_f16_e32 v25, v27, v4
	v_sub_f16_e32 v29, v48, v50
	v_add_f16_e32 v34, v45, v47
	v_add_f16_e32 v35, v49, v51
	v_sub_f16_e32 v36, v5, v11
	v_sub_f16_e32 v38, v7, v9
	;; [unrolled: 1-line block ×3, first 2 shown]
	v_add_f16_e32 v41, v47, v53
	v_sub_f16_e32 v42, v49, v47
	v_sub_f16_e32 v47, v47, v53
	v_sub_f16_e32 v55, v5, v7
	v_sub_f16_e32 v5, v7, v5
	v_add_f16_e32 v14, v14, v48
	v_fma_f16 v48, -0.5, v15, v12
	v_add_f16_e32 v15, v18, v19
	v_add_f16_e32 v19, v30, v31
	;; [unrolled: 1-line block ×3, first 2 shown]
	v_fma_f16 v30, -0.5, v46, v13
	v_sub_f16_e32 v40, v53, v51
	v_sub_f16_e32 v54, v49, v51
	v_fmac_f16_e32 v13, -0.5, v57
	v_sub_f16_e32 v16, v4, v10
	v_sub_f16_e32 v17, v6, v8
	v_add_f16_e32 v26, v6, v8
	v_add_f16_e32 v32, v4, v10
	v_sub_f16_e32 v4, v6, v4
	v_sub_f16_e32 v56, v11, v9
	;; [unrolled: 1-line block ×3, first 2 shown]
	v_fmac_f16_e32 v12, -0.5, v22
	v_add_f16_e32 v18, v23, v24
	v_add_f16_e32 v6, v25, v6
	;; [unrolled: 1-line block ×3, first 2 shown]
	v_fma_f16 v24, -0.5, v35, v45
	v_add_f16_e32 v7, v7, v9
	v_fmamk_f16 v9, v47, 0x3b9c, v30
	v_add_f16_e32 v25, v39, v40
	v_fmac_f16_e32 v45, -0.5, v41
	v_fmamk_f16 v40, v54, 0xbb9c, v13
	v_fmac_f16_e32 v13, 0x3b9c, v54
	v_fmac_f16_e32 v30, 0xbb9c, v47
	v_sub_f16_e32 v33, v8, v10
	v_fma_f16 v23, -0.5, v26, v27
	v_fmac_f16_e32 v27, -0.5, v32
	v_add_f16_e32 v31, v55, v56
	v_fmamk_f16 v32, v16, 0xbb9c, v48
	v_fmac_f16_e32 v48, 0x3b9c, v16
	v_add_f16_e32 v6, v6, v8
	v_add_f16_e32 v8, v22, v51
	v_fmamk_f16 v22, v36, 0xbb9c, v24
	v_fmac_f16_e32 v9, 0x38b4, v54
	v_sub_f16_e32 v43, v51, v53
	v_add_f16_e32 v5, v5, v58
	v_fmac_f16_e32 v24, 0x3b9c, v36
	v_fmamk_f16 v39, v38, 0x3b9c, v45
	v_fmac_f16_e32 v45, 0xbb9c, v38
	v_fmac_f16_e32 v40, 0x38b4, v47
	v_fmac_f16_e32 v13, 0xb8b4, v47
	v_fmac_f16_e32 v30, 0xb8b4, v54
	v_add_f16_e32 v14, v14, v50
	v_fmamk_f16 v34, v28, 0x3b9c, v23
	v_fmamk_f16 v35, v29, 0xbb9c, v27
	v_fmac_f16_e32 v27, 0x3b9c, v29
	v_fmac_f16_e32 v32, 0xb8b4, v17
	;; [unrolled: 1-line block ×3, first 2 shown]
	v_add_f16_e32 v6, v6, v10
	v_fmac_f16_e32 v22, 0xb8b4, v38
	v_add_f16_e32 v10, v7, v11
	v_fmac_f16_e32 v9, 0x34f2, v31
	v_add_f16_e32 v4, v4, v33
	v_add_f16_e32 v26, v42, v43
	v_fmamk_f16 v33, v17, 0x3b9c, v12
	v_fmac_f16_e32 v12, 0xbb9c, v17
	v_fmac_f16_e32 v23, 0xbb9c, v28
	v_fmac_f16_e32 v24, 0x38b4, v38
	v_fmac_f16_e32 v39, 0xb8b4, v36
	v_fmac_f16_e32 v45, 0x38b4, v36
	v_fmac_f16_e32 v40, 0x34f2, v5
	v_fmac_f16_e32 v13, 0x34f2, v5
	v_fmac_f16_e32 v30, 0x34f2, v31
	v_add_f16_e32 v41, v14, v52
	v_fmac_f16_e32 v34, 0x38b4, v29
	v_fmac_f16_e32 v35, 0x38b4, v28
	;; [unrolled: 1-line block ×6, first 2 shown]
	v_add_f16_e32 v14, v6, v10
	v_sub_f16_e32 v15, v6, v10
	v_mul_f16_e32 v10, 0xb8b4, v9
	v_mul_f16_e32 v28, 0x3a79, v9
	v_fmac_f16_e32 v33, 0xb8b4, v16
	v_fmac_f16_e32 v12, 0x38b4, v16
	;; [unrolled: 1-line block ×6, first 2 shown]
	v_mul_f16_e32 v11, 0xbb9c, v40
	v_mul_f16_e32 v25, 0xbb9c, v13
	;; [unrolled: 1-line block ×6, first 2 shown]
	v_add_f16_e32 v8, v8, v53
	v_fmac_f16_e32 v34, 0x34f2, v19
	v_fmac_f16_e32 v10, 0x3a79, v22
	;; [unrolled: 1-line block ×14, first 2 shown]
	v_add_f16_e32 v4, v41, v8
	v_add_f16_e32 v5, v32, v10
	;; [unrolled: 1-line block ×3, first 2 shown]
	v_sub_f16_e32 v7, v41, v8
	v_add_f16_e32 v8, v33, v11
	v_add_f16_e32 v9, v12, v25
	;; [unrolled: 1-line block ×6, first 2 shown]
	v_sub_f16_e32 v10, v32, v10
	v_sub_f16_e32 v11, v33, v11
	;; [unrolled: 1-line block ×8, first 2 shown]
	v_pack_b32_f16 v36, v4, v14
	v_pack_b32_f16 v26, v5, v16
	;; [unrolled: 1-line block ×10, first 2 shown]
	ds_store_2addr_b32 v37, v36, v26 offset1:17
	ds_store_2addr_b32 v37, v27, v28 offset0:34 offset1:51
	ds_store_2addr_b32 v37, v29, v38 offset0:68 offset1:85
	;; [unrolled: 1-line block ×4, first 2 shown]
	global_wb scope:SCOPE_SE
	s_wait_dscnt 0x0
	s_barrier_signal -1
	s_barrier_wait -1
	global_inv scope:SCOPE_SE
	s_and_saveexec_b32 s1, s0
	s_cbranch_execz .LBB0_21
; %bb.20:
	v_add_nc_u32_e32 v6, 0x1400, v20
	v_add_nc_u32_e32 v7, 0x400, v20
	;; [unrolled: 1-line block ×4, first 2 shown]
	ds_load_2addr_b32 v[4:5], v20 offset1:170
	ds_load_b32 v1, v20 offset:6800
	ds_load_2addr_b32 v[12:13], v6 offset0:80 offset1:250
	ds_load_2addr_b32 v[8:9], v7 offset0:84 offset1:254
	;; [unrolled: 1-line block ×4, first 2 shown]
	s_wait_dscnt 0x5
	v_lshrrev_b32_e32 v14, 16, v4
	s_wait_dscnt 0x4
	v_lshrrev_b32_e32 v21, 16, v1
	v_lshrrev_b32_e32 v16, 16, v5
	s_wait_dscnt 0x3
	v_lshrrev_b32_e32 v22, 16, v12
	v_lshrrev_b32_e32 v23, 16, v13
	s_wait_dscnt 0x2
	v_lshrrev_b32_e32 v19, 16, v8
	v_lshrrev_b32_e32 v18, 16, v9
	s_wait_dscnt 0x1
	v_lshrrev_b32_e32 v17, 16, v6
	v_lshrrev_b32_e32 v15, 16, v7
	s_wait_dscnt 0x0
	v_lshrrev_b32_e32 v24, 16, v10
	v_lshrrev_b32_e32 v25, 16, v11
.LBB0_21:
	s_wait_alu 0xfffe
	s_or_b32 exec_lo, exec_lo, s1
	global_wb scope:SCOPE_SE
	s_barrier_signal -1
	s_barrier_wait -1
	global_inv scope:SCOPE_SE
	s_and_saveexec_b32 s1, s0
	s_cbranch_execz .LBB0_23
; %bb.22:
	v_dual_mov_b32 v27, 0 :: v_dual_add_nc_u32 v26, 0xffffff56, v0
	v_add_nc_u32_e32 v36, 0x400, v20
	v_add_nc_u32_e32 v37, 0xa00, v20
	;; [unrolled: 1-line block ×3, first 2 shown]
	s_delay_alu instid0(VALU_DEP_4) | instskip(SKIP_1) | instid1(VALU_DEP_2)
	v_cndmask_b32_e64 v26, v26, v0, s0
	v_add_nc_u32_e32 v39, 0x1400, v20
	v_mul_i32_i24_e32 v26, 10, v26
	s_delay_alu instid0(VALU_DEP_1) | instskip(NEXT) | instid1(VALU_DEP_1)
	v_lshlrev_b64_e32 v[26:27], 2, v[26:27]
	v_add_co_u32 v34, s0, s4, v26
	s_wait_alu 0xf1ff
	s_delay_alu instid0(VALU_DEP_2)
	v_add_co_ci_u32_e64 v35, s0, s5, v27, s0
	s_clause 0x2
	global_load_b128 v[26:29], v[34:35], off offset:612
	global_load_b128 v[30:33], v[34:35], off offset:628
	global_load_b64 v[34:35], v[34:35], off offset:644
	s_wait_loadcnt 0x2
	v_lshrrev_b32_e32 v40, 16, v26
	v_lshrrev_b32_e32 v41, 16, v27
	s_wait_loadcnt 0x0
	v_lshrrev_b32_e32 v46, 16, v35
	v_lshrrev_b32_e32 v42, 16, v28
	;; [unrolled: 1-line block ×8, first 2 shown]
	v_mul_f16_e32 v50, v16, v40
	v_mul_f16_e32 v51, v21, v46
	;; [unrolled: 1-line block ×20, first 2 shown]
	v_fmac_f16_e32 v50, v5, v26
	v_fmac_f16_e32 v51, v1, v35
	v_fma_f16 v1, v21, v35, -v46
	v_fma_f16 v5, v16, v26, -v40
	v_fmac_f16_e32 v52, v8, v27
	v_fmac_f16_e32 v53, v13, v34
	v_fma_f16 v8, v23, v34, -v49
	v_fma_f16 v13, v19, v27, -v41
	;; [unrolled: 4-line block ×5, first 2 shown]
	v_sub_f16_e32 v15, v50, v51
	v_add_f16_e32 v16, v5, v1
	v_sub_f16_e32 v27, v5, v1
	v_add_f16_e32 v40, v4, v50
	v_add_f16_e32 v5, v14, v5
	v_sub_f16_e32 v17, v52, v53
	v_add_f16_e32 v18, v13, v8
	v_sub_f16_e32 v19, v54, v55
	;; [unrolled: 2-line block ×4, first 2 shown]
	v_add_f16_e32 v25, v10, v7
	v_add_f16_e32 v26, v50, v51
	v_sub_f16_e32 v29, v13, v8
	v_sub_f16_e32 v31, v12, v9
	;; [unrolled: 1-line block ×4, first 2 shown]
	v_mul_f16_e32 v41, 0xbbeb, v15
	v_mul_f16_e32 v46, 0xbbeb, v27
	;; [unrolled: 1-line block ×7, first 2 shown]
	v_add_f16_e32 v40, v40, v52
	v_add_f16_e32 v5, v5, v13
	;; [unrolled: 1-line block ×6, first 2 shown]
	v_mul_f16_e32 v42, 0x3482, v17
	v_mul_f16_e32 v43, 0x3b47, v19
	;; [unrolled: 1-line block ×43, first 2 shown]
	v_fmamk_f16 v13, v16, 0xb08e, v41
	v_fma_f16 v98, v26, 0xb08e, -v46
	v_fmamk_f16 v103, v16, 0xb93d, v60
	v_fma_f16 v108, v26, 0xb93d, -v65
	;; [unrolled: 2-line block ×3, first 2 shown]
	v_fma_f16 v70, v16, 0xbbad, -v70
	v_fmac_f16_e32 v75, 0xbbad, v26
	v_fma_f16 v60, v16, 0xb93d, -v60
	v_fmac_f16_e32 v65, 0xb93d, v26
	;; [unrolled: 2-line block ×3, first 2 shown]
	v_fmamk_f16 v123, v26, 0x36a6, v85
	v_add_f16_e32 v40, v40, v54
	v_add_f16_e32 v5, v5, v12
	v_fmamk_f16 v52, v18, 0xbbad, v42
	v_fmamk_f16 v95, v21, 0x36a6, v43
	v_fmamk_f16 v96, v23, 0x3abb, v44
	v_fmamk_f16 v97, v25, 0xb93d, v45
	v_fma_f16 v99, v28, 0xbbad, -v47
	v_fma_f16 v100, v30, 0x36a6, -v48
	v_fma_f16 v101, v32, 0x3abb, -v49
	v_fma_f16 v102, v34, 0xb93d, -v50
	v_fmamk_f16 v104, v18, 0xb08e, v61
	v_fmamk_f16 v105, v21, 0x3abb, v62
	v_fmamk_f16 v106, v23, 0xbbad, v63
	v_fmamk_f16 v107, v25, 0x36a6, v64
	v_fma_f16 v109, v28, 0xb08e, -v66
	v_fma_f16 v110, v30, 0x3abb, -v67
	v_fma_f16 v111, v32, 0xbbad, -v68
	v_fma_f16 v112, v34, 0x36a6, -v69
	;; [unrolled: 8-line block ×3, first 2 shown]
	v_fma_f16 v71, v18, 0x3abb, -v71
	v_fma_f16 v72, v21, 0xb93d, -v72
	v_fma_f16 v73, v23, 0x36a6, -v73
	v_fma_f16 v74, v25, 0xb08e, -v74
	v_fmac_f16_e32 v76, 0x3abb, v28
	v_fmac_f16_e32 v77, 0xb93d, v30
	v_fmac_f16_e32 v78, 0x36a6, v32
	v_fmac_f16_e32 v79, 0xb08e, v34
	v_fma_f16 v61, v18, 0xb08e, -v61
	v_fma_f16 v62, v21, 0x3abb, -v62
	v_fma_f16 v63, v23, 0xbbad, -v63
	v_fma_f16 v64, v25, 0x36a6, -v64
	v_fmac_f16_e32 v66, 0xb08e, v28
	v_fmac_f16_e32 v67, 0x3abb, v30
	v_fmac_f16_e32 v68, 0xbbad, v32
	v_fmac_f16_e32 v69, 0x36a6, v34
	;; [unrolled: 8-line block ×3, first 2 shown]
	v_fmamk_f16 v41, v15, 0x3b47, v80
	v_fmamk_f16 v42, v17, 0x3a0c, v81
	v_fmamk_f16 v43, v19, 0xb482, v82
	v_fmamk_f16 v44, v22, 0xbbeb, v83
	v_fmamk_f16 v45, v24, 0xb853, v84
	v_fmamk_f16 v124, v28, 0xb93d, v86
	v_fmamk_f16 v125, v30, 0xbbad, v87
	v_fmamk_f16 v126, v32, 0xb08e, v88
	v_fmamk_f16 v127, v34, 0x3abb, v89
	v_fma_f16 v128, 0x3853, v15, v90
	v_fma_f16 v129, 0x3b47, v17, v91
	;; [unrolled: 1-line block ×10, first 2 shown]
	v_fmac_f16_e32 v80, 0xbb47, v15
	v_fmac_f16_e32 v81, 0xba0c, v17
	;; [unrolled: 1-line block ×5, first 2 shown]
	v_fma_f16 v12, v26, 0x36a6, -v85
	v_fma_f16 v54, v28, 0xb93d, -v86
	;; [unrolled: 1-line block ×5, first 2 shown]
	v_fmac_f16_e32 v90, 0xb853, v15
	v_fmac_f16_e32 v91, 0xbb47, v17
	v_fmac_f16_e32 v92, 0xbbeb, v19
	v_fmac_f16_e32 v93, 0xba0c, v22
	v_fmac_f16_e32 v94, 0xb482, v24
	v_fma_f16 v15, v26, 0x3abb, -v27
	v_fma_f16 v17, v28, 0x36a6, -v29
	v_fma_f16 v19, v30, 0xb08e, -v31
	v_fma_f16 v22, v32, 0xb93d, -v33
	v_fma_f16 v24, v34, 0xbbad, -v35
	v_add_f16_e32 v26, v4, v98
	v_add_f16_e32 v27, v14, v103
	;; [unrolled: 1-line block ×16, first 2 shown]
	v_add_f16_e64 v60, v14, v128
	v_add_f16_e64 v65, v4, v133
	v_add_f16_e32 v11, v14, v80
	v_add_f16_e32 v12, v4, v12
	;; [unrolled: 1-line block ×37, first 2 shown]
	v_add_f16_e64 v41, v129, v60
	v_add_f16_e64 v42, v134, v65
	v_add_f16_e32 v7, v82, v10
	v_add_f16_e32 v10, v85, v11
	v_add_f16_e32 v11, v92, v12
	v_add_f16_e32 v4, v19, v4
	v_add_f16_e32 v19, v121, v27
	v_add_f16_e32 v27, v78, v29
	v_add_f16_e32 v29, v68, v31
	v_add_f16_e32 v16, v23, v16
	v_add_f16_e32 v23, v126, v32
	v_add_f16_e32 v32, v35, v57
	v_add_f16_e32 v5, v5, v6
	v_add_f16_e32 v18, v48, v18
	v_add_f16_e32 v21, v43, v34
	v_add_f16_e32 v13, v95, v13
	v_add_f16_e64 v33, v130, v41
	v_add_f16_e64 v34, v135, v42
	v_add_f16_e32 v6, v83, v7
	v_add_f16_e32 v7, v86, v10
	v_add_f16_e32 v10, v93, v11
	v_add_f16_e32 v4, v22, v4
	v_add_f16_e32 v22, v79, v27
	v_add_f16_e32 v27, v69, v29
	v_add_f16_e32 v29, v32, v55
	v_add_f16_e32 v5, v5, v9
	v_add_f16_e32 v18, v49, v18
	v_add_f16_e32 v21, v44, v21
	v_add_f16_e32 v12, v96, v13
	v_add_f16_e32 v13, v101, v14
	v_add_f16_e32 v14, v106, v15
	v_add_f16_e32 v15, v111, v17
	v_add_f16_e32 v17, v116, v26
	v_add_f16_e32 v26, v73, v28
	v_add_f16_e32 v28, v63, v30
	v_add_f16_e64 v30, v131, v33
	v_add_f16_e64 v31, v136, v34
	v_add_f16_e32 v9, v94, v10
	v_add_f16_e32 v10, v29, v53
	v_add_f16_e32 v5, v5, v8
	;; [unrolled: 19-line block ×3, first 2 shown]
	v_pack_b32_f16 v21, v23, v21
	v_pack_b32_f16 v16, v18, v16
	;; [unrolled: 1-line block ×11, first 2 shown]
	ds_store_2addr_b32 v36, v21, v16 offset0:84 offset1:254
	ds_store_2addr_b32 v37, v18, v19 offset0:40 offset1:210
	;; [unrolled: 1-line block ×4, first 2 shown]
	ds_store_2addr_b32 v20, v1, v8 offset1:170
	ds_store_b32 v20, v4 offset:6800
.LBB0_23:
	s_wait_alu 0xfffe
	s_or_b32 exec_lo, exec_lo, s1
	global_wb scope:SCOPE_SE
	s_wait_dscnt 0x0
	s_barrier_signal -1
	s_barrier_wait -1
	global_inv scope:SCOPE_SE
	s_and_saveexec_b32 s0, vcc_lo
	s_cbranch_execz .LBB0_25
; %bb.24:
	v_mov_b32_e32 v1, 0
	v_add_co_u32 v30, vcc_lo, s8, v2
	v_add_nc_u32_e32 v2, 0xbb, v0
	s_wait_alu 0xfffd
	v_add_co_ci_u32_e32 v31, vcc_lo, s9, v3, vcc_lo
	v_dual_mov_b32 v3, v1 :: v_dual_add_nc_u32 v8, 0x176, v0
	v_lshlrev_b64_e32 v[4:5], 2, v[0:1]
	v_lshl_add_u32 v28, v0, 2, 0
	v_mov_b32_e32 v9, v1
	s_delay_alu instid0(VALU_DEP_4)
	v_lshlrev_b64_e32 v[2:3], 2, v[2:3]
	v_dual_mov_b32 v11, v1 :: v_dual_add_nc_u32 v10, 0x231, v0
	v_add_co_u32 v4, vcc_lo, v30, v4
	v_add_nc_u32_e32 v12, 0x500, v28
	v_lshlrev_b64_e32 v[8:9], 2, v[8:9]
	v_dual_mov_b32 v15, v1 :: v_dual_add_nc_u32 v14, 0x2ec, v0
	s_wait_alu 0xfffd
	v_add_co_ci_u32_e32 v5, vcc_lo, v31, v5, vcc_lo
	v_add_co_u32 v2, vcc_lo, v30, v2
	v_lshlrev_b64_e32 v[10:11], 2, v[10:11]
	v_dual_mov_b32 v19, v1 :: v_dual_add_nc_u32 v16, 0xb00, v28
	v_dual_mov_b32 v21, v1 :: v_dual_add_nc_u32 v18, 0x3a7, v0
	s_wait_alu 0xfffd
	v_add_co_ci_u32_e32 v3, vcc_lo, v31, v3, vcc_lo
	v_add_co_u32 v8, vcc_lo, v30, v8
	v_lshlrev_b64_e32 v[14:15], 2, v[14:15]
	v_dual_mov_b32 v23, v1 :: v_dual_add_nc_u32 v20, 0x462, v0
	s_wait_alu 0xfffd
	v_add_co_ci_u32_e32 v9, vcc_lo, v31, v9, vcc_lo
	ds_load_2addr_b32 v[6:7], v28 offset1:187
	v_add_co_u32 v10, vcc_lo, v30, v10
	v_lshlrev_b64_e32 v[18:19], 2, v[18:19]
	v_dual_mov_b32 v27, v1 :: v_dual_add_nc_u32 v24, 0x1100, v28
	v_add_nc_u32_e32 v22, 0x51d, v0
	ds_load_2addr_b32 v[12:13], v12 offset0:54 offset1:241
	s_wait_alu 0xfffd
	v_add_co_ci_u32_e32 v11, vcc_lo, v31, v11, vcc_lo
	v_add_co_u32 v14, vcc_lo, v30, v14
	v_lshlrev_b64_e32 v[20:21], 2, v[20:21]
	v_add_nc_u32_e32 v28, 0x1700, v28
	ds_load_2addr_b32 v[16:17], v16 offset0:44 offset1:231
	v_add_nc_u32_e32 v26, 0x5d8, v0
	s_wait_alu 0xfffd
	v_add_co_ci_u32_e32 v15, vcc_lo, v31, v15, vcc_lo
	v_add_co_u32 v18, vcc_lo, v30, v18
	ds_load_2addr_b32 v[24:25], v24 offset0:34 offset1:221
	v_lshlrev_b64_e32 v[22:23], 2, v[22:23]
	v_add_nc_u32_e32 v0, 0x693, v0
	s_wait_alu 0xfffd
	v_add_co_ci_u32_e32 v19, vcc_lo, v31, v19, vcc_lo
	ds_load_2addr_b32 v[28:29], v28 offset0:24 offset1:211
	v_add_co_u32 v20, vcc_lo, v30, v20
	v_lshlrev_b64_e32 v[26:27], 2, v[26:27]
	s_wait_alu 0xfffd
	v_add_co_ci_u32_e32 v21, vcc_lo, v31, v21, vcc_lo
	v_add_co_u32 v22, vcc_lo, v30, v22
	v_lshlrev_b64_e32 v[0:1], 2, v[0:1]
	s_wait_alu 0xfffd
	v_add_co_ci_u32_e32 v23, vcc_lo, v31, v23, vcc_lo
	v_add_co_u32 v26, vcc_lo, v30, v26
	s_wait_alu 0xfffd
	v_add_co_ci_u32_e32 v27, vcc_lo, v31, v27, vcc_lo
	v_add_co_u32 v0, vcc_lo, v30, v0
	s_wait_alu 0xfffd
	v_add_co_ci_u32_e32 v1, vcc_lo, v31, v1, vcc_lo
	s_wait_dscnt 0x4
	s_clause 0x1
	global_store_b32 v[4:5], v6, off
	global_store_b32 v[2:3], v7, off
	s_wait_dscnt 0x3
	s_clause 0x1
	global_store_b32 v[8:9], v12, off
	global_store_b32 v[10:11], v13, off
	;; [unrolled: 4-line block ×5, first 2 shown]
.LBB0_25:
	s_nop 0
	s_sendmsg sendmsg(MSG_DEALLOC_VGPRS)
	s_endpgm
	.section	.rodata,"a",@progbits
	.p2align	6, 0x0
	.amdhsa_kernel fft_rtc_back_len1870_factors_17_10_11_wgs_187_tpt_187_halfLds_half_ip_CI_unitstride_sbrr_C2R_dirReg
		.amdhsa_group_segment_fixed_size 0
		.amdhsa_private_segment_fixed_size 0
		.amdhsa_kernarg_size 88
		.amdhsa_user_sgpr_count 2
		.amdhsa_user_sgpr_dispatch_ptr 0
		.amdhsa_user_sgpr_queue_ptr 0
		.amdhsa_user_sgpr_kernarg_segment_ptr 1
		.amdhsa_user_sgpr_dispatch_id 0
		.amdhsa_user_sgpr_private_segment_size 0
		.amdhsa_wavefront_size32 1
		.amdhsa_uses_dynamic_stack 0
		.amdhsa_enable_private_segment 0
		.amdhsa_system_sgpr_workgroup_id_x 1
		.amdhsa_system_sgpr_workgroup_id_y 0
		.amdhsa_system_sgpr_workgroup_id_z 0
		.amdhsa_system_sgpr_workgroup_info 0
		.amdhsa_system_vgpr_workitem_id 0
		.amdhsa_next_free_vgpr 138
		.amdhsa_next_free_sgpr 32
		.amdhsa_reserve_vcc 1
		.amdhsa_float_round_mode_32 0
		.amdhsa_float_round_mode_16_64 0
		.amdhsa_float_denorm_mode_32 3
		.amdhsa_float_denorm_mode_16_64 3
		.amdhsa_fp16_overflow 0
		.amdhsa_workgroup_processor_mode 1
		.amdhsa_memory_ordered 1
		.amdhsa_forward_progress 0
		.amdhsa_round_robin_scheduling 0
		.amdhsa_exception_fp_ieee_invalid_op 0
		.amdhsa_exception_fp_denorm_src 0
		.amdhsa_exception_fp_ieee_div_zero 0
		.amdhsa_exception_fp_ieee_overflow 0
		.amdhsa_exception_fp_ieee_underflow 0
		.amdhsa_exception_fp_ieee_inexact 0
		.amdhsa_exception_int_div_zero 0
	.end_amdhsa_kernel
	.text
.Lfunc_end0:
	.size	fft_rtc_back_len1870_factors_17_10_11_wgs_187_tpt_187_halfLds_half_ip_CI_unitstride_sbrr_C2R_dirReg, .Lfunc_end0-fft_rtc_back_len1870_factors_17_10_11_wgs_187_tpt_187_halfLds_half_ip_CI_unitstride_sbrr_C2R_dirReg
                                        ; -- End function
	.section	.AMDGPU.csdata,"",@progbits
; Kernel info:
; codeLenInByte = 13000
; NumSgprs: 34
; NumVgprs: 138
; ScratchSize: 0
; MemoryBound: 0
; FloatMode: 240
; IeeeMode: 1
; LDSByteSize: 0 bytes/workgroup (compile time only)
; SGPRBlocks: 4
; VGPRBlocks: 17
; NumSGPRsForWavesPerEU: 34
; NumVGPRsForWavesPerEU: 138
; Occupancy: 10
; WaveLimiterHint : 1
; COMPUTE_PGM_RSRC2:SCRATCH_EN: 0
; COMPUTE_PGM_RSRC2:USER_SGPR: 2
; COMPUTE_PGM_RSRC2:TRAP_HANDLER: 0
; COMPUTE_PGM_RSRC2:TGID_X_EN: 1
; COMPUTE_PGM_RSRC2:TGID_Y_EN: 0
; COMPUTE_PGM_RSRC2:TGID_Z_EN: 0
; COMPUTE_PGM_RSRC2:TIDIG_COMP_CNT: 0
	.text
	.p2alignl 7, 3214868480
	.fill 96, 4, 3214868480
	.type	__hip_cuid_3e2d7e28b064a973,@object ; @__hip_cuid_3e2d7e28b064a973
	.section	.bss,"aw",@nobits
	.globl	__hip_cuid_3e2d7e28b064a973
__hip_cuid_3e2d7e28b064a973:
	.byte	0                               ; 0x0
	.size	__hip_cuid_3e2d7e28b064a973, 1

	.ident	"AMD clang version 19.0.0git (https://github.com/RadeonOpenCompute/llvm-project roc-6.4.0 25133 c7fe45cf4b819c5991fe208aaa96edf142730f1d)"
	.section	".note.GNU-stack","",@progbits
	.addrsig
	.addrsig_sym __hip_cuid_3e2d7e28b064a973
	.amdgpu_metadata
---
amdhsa.kernels:
  - .args:
      - .actual_access:  read_only
        .address_space:  global
        .offset:         0
        .size:           8
        .value_kind:     global_buffer
      - .offset:         8
        .size:           8
        .value_kind:     by_value
      - .actual_access:  read_only
        .address_space:  global
        .offset:         16
        .size:           8
        .value_kind:     global_buffer
      - .actual_access:  read_only
        .address_space:  global
        .offset:         24
        .size:           8
        .value_kind:     global_buffer
      - .offset:         32
        .size:           8
        .value_kind:     by_value
      - .actual_access:  read_only
        .address_space:  global
        .offset:         40
        .size:           8
        .value_kind:     global_buffer
      - .actual_access:  read_only
        .address_space:  global
        .offset:         48
        .size:           8
        .value_kind:     global_buffer
      - .offset:         56
        .size:           4
        .value_kind:     by_value
      - .actual_access:  read_only
        .address_space:  global
        .offset:         64
        .size:           8
        .value_kind:     global_buffer
      - .actual_access:  read_only
        .address_space:  global
        .offset:         72
        .size:           8
        .value_kind:     global_buffer
      - .address_space:  global
        .offset:         80
        .size:           8
        .value_kind:     global_buffer
    .group_segment_fixed_size: 0
    .kernarg_segment_align: 8
    .kernarg_segment_size: 88
    .language:       OpenCL C
    .language_version:
      - 2
      - 0
    .max_flat_workgroup_size: 187
    .name:           fft_rtc_back_len1870_factors_17_10_11_wgs_187_tpt_187_halfLds_half_ip_CI_unitstride_sbrr_C2R_dirReg
    .private_segment_fixed_size: 0
    .sgpr_count:     34
    .sgpr_spill_count: 0
    .symbol:         fft_rtc_back_len1870_factors_17_10_11_wgs_187_tpt_187_halfLds_half_ip_CI_unitstride_sbrr_C2R_dirReg.kd
    .uniform_work_group_size: 1
    .uses_dynamic_stack: false
    .vgpr_count:     138
    .vgpr_spill_count: 0
    .wavefront_size: 32
    .workgroup_processor_mode: 1
amdhsa.target:   amdgcn-amd-amdhsa--gfx1201
amdhsa.version:
  - 1
  - 2
...

	.end_amdgpu_metadata
